;; amdgpu-corpus repo=ROCm/rocFFT kind=compiled arch=gfx906 opt=O3
	.text
	.amdgcn_target "amdgcn-amd-amdhsa--gfx906"
	.amdhsa_code_object_version 6
	.protected	fft_rtc_fwd_len1331_factors_11_11_11_wgs_121_tpt_121_dp_op_CI_CI_sbrc_aligned_dirReg ; -- Begin function fft_rtc_fwd_len1331_factors_11_11_11_wgs_121_tpt_121_dp_op_CI_CI_sbrc_aligned_dirReg
	.globl	fft_rtc_fwd_len1331_factors_11_11_11_wgs_121_tpt_121_dp_op_CI_CI_sbrc_aligned_dirReg
	.p2align	8
	.type	fft_rtc_fwd_len1331_factors_11_11_11_wgs_121_tpt_121_dp_op_CI_CI_sbrc_aligned_dirReg,@function
fft_rtc_fwd_len1331_factors_11_11_11_wgs_121_tpt_121_dp_op_CI_CI_sbrc_aligned_dirReg: ; @fft_rtc_fwd_len1331_factors_11_11_11_wgs_121_tpt_121_dp_op_CI_CI_sbrc_aligned_dirReg
; %bb.0:
	s_load_dwordx8 s[16:23], s[4:5], 0x0
	s_mov_b32 s10, 0
	s_mov_b64 s[12:13], 2
	s_mov_b32 s3, s10
	s_waitcnt lgkmcnt(0)
	s_load_dword s7, s[20:21], 0x8
	s_load_dwordx4 s[28:31], s[4:5], 0x58
	s_load_dwordx2 s[8:9], s[4:5], 0x20
	s_load_dwordx4 s[36:39], s[22:23], 0x0
	v_cmp_gt_u64_e64 s[0:1], s[18:19], 2
	s_waitcnt lgkmcnt(0)
	v_cvt_f32_u32_e32 v1, s7
	s_sub_i32 s2, 0, s7
	s_load_dwordx4 s[24:27], s[8:9], 0x0
	v_rcp_iflag_f32_e32 v1, v1
	v_mul_f32_e32 v1, 0x4f7ffffe, v1
	v_cvt_u32_f32_e32 v1, v1
	v_readfirstlane_b32 s4, v1
	s_mul_i32 s2, s2, s4
	s_mul_hi_u32 s2, s4, s2
	s_add_i32 s4, s4, s2
	s_mul_hi_u32 s2, s6, s4
	s_mul_i32 s4, s2, s7
	s_sub_i32 s4, s6, s4
	s_add_i32 s5, s2, 1
	s_sub_i32 s11, s4, s7
	s_cmp_ge_u32 s4, s7
	s_cselect_b32 s2, s5, s2
	s_cselect_b32 s4, s11, s4
	s_add_i32 s5, s2, 1
	s_cmp_ge_u32 s4, s7
	s_waitcnt lgkmcnt(0)
	s_cselect_b32 s27, s5, s2
	s_and_b64 vcc, exec, s[0:1]
	s_mul_i32 s0, s27, s7
	s_sub_i32 s0, s6, s0
	s_mul_i32 s1, s25, s0
	s_mul_hi_u32 s4, s24, s0
	s_mul_i32 s2, s0, s38
	s_mul_i32 s24, s24, s0
	s_add_i32 s25, s4, s1
	s_cbranch_vccz .LBB0_9
; %bb.1:
	v_mov_b32_e32 v1, s18
	s_mov_b32 s4, 3
	v_mov_b32_e32 v2, s19
.LBB0_2:                                ; =>This Inner Loop Header: Depth=1
	s_lshl_b64 s[12:13], s[12:13], 3
	s_add_u32 s0, s20, s12
	s_addc_u32 s1, s21, s13
	s_load_dwordx2 s[14:15], s[0:1], 0x0
	s_waitcnt lgkmcnt(0)
	s_mov_b32 s11, s15
	s_cmp_lg_u64 s[10:11], 0
	s_cbranch_scc0 .LBB0_7
; %bb.3:                                ;   in Loop: Header=BB0_2 Depth=1
	v_cvt_f32_u32_e32 v3, s14
	v_cvt_f32_u32_e32 v4, s15
	s_sub_u32 s0, 0, s14
	s_subb_u32 s1, 0, s15
	v_mac_f32_e32 v3, 0x4f800000, v4
	v_rcp_f32_e32 v3, v3
	v_mul_f32_e32 v3, 0x5f7ffffc, v3
	v_mul_f32_e32 v4, 0x2f800000, v3
	v_trunc_f32_e32 v4, v4
	v_mac_f32_e32 v3, 0xcf800000, v4
	v_cvt_u32_f32_e32 v4, v4
	v_cvt_u32_f32_e32 v3, v3
	v_readfirstlane_b32 s5, v4
	v_readfirstlane_b32 s11, v3
	s_mul_i32 s33, s0, s5
	s_mul_hi_u32 s35, s0, s11
	s_mul_i32 s34, s1, s11
	s_add_i32 s33, s35, s33
	s_mul_i32 s39, s0, s11
	s_add_i32 s33, s33, s34
	s_mul_hi_u32 s34, s11, s33
	s_mul_i32 s35, s11, s33
	s_mul_hi_u32 s11, s11, s39
	s_add_u32 s11, s11, s35
	s_addc_u32 s34, 0, s34
	s_mul_hi_u32 s40, s5, s39
	s_mul_i32 s39, s5, s39
	s_add_u32 s11, s11, s39
	s_mul_hi_u32 s35, s5, s33
	s_addc_u32 s11, s34, s40
	s_addc_u32 s34, s35, 0
	s_mul_i32 s33, s5, s33
	s_add_u32 s11, s11, s33
	s_addc_u32 s33, 0, s34
	v_add_co_u32_e32 v3, vcc, s11, v3
	s_cmp_lg_u64 vcc, 0
	s_addc_u32 s5, s5, s33
	v_readfirstlane_b32 s33, v3
	s_mul_i32 s11, s0, s5
	s_mul_hi_u32 s34, s0, s33
	s_add_i32 s11, s34, s11
	s_mul_i32 s1, s1, s33
	s_add_i32 s11, s11, s1
	s_mul_i32 s0, s0, s33
	s_mul_hi_u32 s34, s5, s0
	s_mul_i32 s35, s5, s0
	s_mul_i32 s40, s33, s11
	s_mul_hi_u32 s0, s33, s0
	s_mul_hi_u32 s39, s33, s11
	s_add_u32 s0, s0, s40
	s_addc_u32 s33, 0, s39
	s_add_u32 s0, s0, s35
	s_mul_hi_u32 s1, s5, s11
	s_addc_u32 s0, s33, s34
	s_addc_u32 s1, s1, 0
	s_mul_i32 s11, s5, s11
	s_add_u32 s0, s0, s11
	s_addc_u32 s1, 0, s1
	v_add_co_u32_e32 v3, vcc, s0, v3
	s_cmp_lg_u64 vcc, 0
	s_addc_u32 s0, s5, s1
	v_readfirstlane_b32 s5, v3
	s_mul_hi_u32 s1, s27, s0
	s_mul_i32 s0, s27, s0
	s_mul_hi_u32 s5, s27, s5
	s_add_u32 s0, s5, s0
	s_addc_u32 s5, 0, s1
	s_mul_i32 s0, s15, s5
	s_mul_hi_u32 s1, s14, s5
	s_add_i32 s11, s1, s0
	s_mul_i32 s1, s14, s5
	v_mov_b32_e32 v3, s1
	s_sub_i32 s0, 0, s11
	v_sub_co_u32_e32 v3, vcc, s27, v3
	s_cmp_lg_u64 vcc, 0
	s_subb_u32 s33, s0, s15
	v_subrev_co_u32_e64 v4, s[0:1], s14, v3
	s_cmp_lg_u64 s[0:1], 0
	s_subb_u32 s0, s33, 0
	s_cmp_ge_u32 s0, s15
	v_readfirstlane_b32 s33, v4
	s_cselect_b32 s1, -1, 0
	s_cmp_ge_u32 s33, s14
	s_cselect_b32 s33, -1, 0
	s_cmp_eq_u32 s0, s15
	s_cselect_b32 s0, s33, s1
	s_add_u32 s1, s5, 1
	s_addc_u32 s33, 0, 0
	s_add_u32 s34, s5, 2
	s_addc_u32 s35, 0, 0
	s_cmp_lg_u32 s0, 0
	s_cselect_b32 s0, s34, s1
	s_cselect_b32 s1, s35, s33
	s_cmp_lg_u64 vcc, 0
	s_subb_u32 s11, 0, s11
	s_cmp_ge_u32 s11, s15
	v_readfirstlane_b32 s34, v3
	s_cselect_b32 s33, -1, 0
	s_cmp_ge_u32 s34, s14
	s_cselect_b32 s34, -1, 0
	s_cmp_eq_u32 s11, s15
	s_cselect_b32 s11, s34, s33
	s_cmp_lg_u32 s11, 0
	s_cselect_b32 s1, s1, 0
	s_cselect_b32 s0, s0, s5
	s_cbranch_execnz .LBB0_5
.LBB0_4:                                ;   in Loop: Header=BB0_2 Depth=1
	v_cvt_f32_u32_e32 v3, s14
	s_sub_i32 s0, 0, s14
	v_rcp_iflag_f32_e32 v3, v3
	v_mul_f32_e32 v3, 0x4f7ffffe, v3
	v_cvt_u32_f32_e32 v3, v3
	v_readfirstlane_b32 s1, v3
	s_mul_i32 s0, s0, s1
	s_mul_hi_u32 s0, s1, s0
	s_add_i32 s1, s1, s0
	s_mul_hi_u32 s0, s27, s1
	s_mul_i32 s5, s0, s14
	s_sub_i32 s5, s27, s5
	s_add_i32 s1, s0, 1
	s_sub_i32 s11, s5, s14
	s_cmp_ge_u32 s5, s14
	s_cselect_b32 s0, s1, s0
	s_cselect_b32 s5, s11, s5
	s_add_i32 s1, s0, 1
	s_cmp_ge_u32 s5, s14
	s_cselect_b32 s0, s1, s0
	s_mov_b32 s1, s10
.LBB0_5:                                ;   in Loop: Header=BB0_2 Depth=1
	s_mul_i32 s5, s0, s15
	s_mul_hi_u32 s11, s0, s14
	s_add_i32 s5, s11, s5
	s_mul_i32 s1, s1, s14
	s_add_i32 s5, s5, s1
	s_mul_i32 s1, s0, s14
	s_sub_u32 s1, s27, s1
	s_subb_u32 s5, 0, s5
	s_add_u32 s34, s22, s12
	s_addc_u32 s35, s23, s13
	s_load_dwordx2 s[34:35], s[34:35], 0x0
	s_mul_i32 s7, s7, s14
	s_waitcnt lgkmcnt(0)
	s_mul_i32 s11, s34, s5
	s_mul_hi_u32 s15, s34, s1
	s_add_i32 s11, s15, s11
	s_mul_i32 s15, s35, s1
	s_add_i32 s11, s11, s15
	s_mul_i32 s15, s34, s1
	s_add_u32 s2, s15, s2
	s_addc_u32 s3, s11, s3
	s_add_u32 s12, s8, s12
	s_addc_u32 s13, s9, s13
	s_load_dwordx2 s[12:13], s[12:13], 0x0
	s_waitcnt lgkmcnt(0)
	s_mul_i32 s5, s12, s5
	s_mul_hi_u32 s11, s12, s1
	s_add_i32 s5, s11, s5
	s_mul_i32 s11, s13, s1
	s_add_i32 s5, s5, s11
	s_mul_i32 s1, s12, s1
	s_add_u32 s24, s1, s24
	s_addc_u32 s25, s5, s25
	s_mov_b32 s5, s10
	v_cmp_ge_u64_e32 vcc, s[4:5], v[1:2]
	s_mov_b64 s[12:13], s[4:5]
	s_add_i32 s4, s4, 1
	s_cbranch_vccnz .LBB0_8
; %bb.6:                                ;   in Loop: Header=BB0_2 Depth=1
	s_mov_b32 s27, s0
	s_branch .LBB0_2
.LBB0_7:                                ;   in Loop: Header=BB0_2 Depth=1
                                        ; implicit-def: $sgpr0_sgpr1
	s_branch .LBB0_4
.LBB0_8:
	v_cvt_f32_u32_e32 v1, s7
	s_sub_i32 s0, 0, s7
	v_rcp_iflag_f32_e32 v1, v1
	v_mul_f32_e32 v1, 0x4f7ffffe, v1
	v_cvt_u32_f32_e32 v1, v1
	v_readfirstlane_b32 s1, v1
	s_mul_i32 s0, s0, s1
	s_mul_hi_u32 s0, s1, s0
	s_add_i32 s1, s1, s0
	s_mul_hi_u32 s0, s6, s1
	s_mul_i32 s1, s0, s7
	s_sub_i32 s1, s6, s1
	s_add_i32 s4, s0, 1
	s_sub_i32 s5, s1, s7
	s_cmp_ge_u32 s1, s7
	s_cselect_b32 s0, s4, s0
	s_cselect_b32 s1, s5, s1
	s_add_i32 s4, s0, 1
	s_cmp_ge_u32 s1, s7
	s_cselect_b32 s27, s4, s0
.LBB0_9:
	s_lshl_b64 s[0:1], s[18:19], 3
	s_add_u32 s4, s22, s0
	s_addc_u32 s5, s23, s1
	s_load_dwordx2 s[4:5], s[4:5], 0x0
	v_mad_u64_u32 v[1:2], s[6:7], s36, v0, 0
	v_add_u32_e32 v5, 0x79, v0
	v_mov_b32_e32 v51, s38
	s_waitcnt lgkmcnt(0)
	s_mul_i32 s5, s5, s27
	s_mul_hi_u32 s6, s4, s27
	s_add_i32 s5, s6, s5
	s_add_u32 s0, s8, s0
	s_addc_u32 s1, s9, s1
	s_load_dwordx2 s[18:19], s[0:1], 0x0
	v_mad_u64_u32 v[2:3], s[0:1], s37, v0, v[2:3]
	s_mul_i32 s4, s4, s27
	v_mov_b32_e32 v46, 0
	s_waitcnt lgkmcnt(0)
	s_mul_i32 s0, s19, s27
	s_mul_hi_u32 s1, s18, s27
	s_add_i32 s19, s1, s0
	s_lshl_b64 s[0:1], s[4:5], 4
	s_add_u32 s4, s28, s0
	s_addc_u32 s5, s29, s1
	s_lshl_b64 s[0:1], s[2:3], 4
	v_mad_u64_u32 v[3:4], s[2:3], s36, v5, 0
	s_add_u32 s14, s4, s0
	s_addc_u32 s15, s5, s1
	v_mad_u64_u32 v[4:5], s[0:1], s37, v5, v[4:5]
	v_add_u32_e32 v5, 0xf2, v0
	v_mad_u64_u32 v[11:12], s[0:1], s36, v5, 0
	v_lshlrev_b64 v[1:2], 4, v[1:2]
	v_mov_b32_e32 v6, s15
	v_add_co_u32_e32 v9, vcc, s14, v1
	v_addc_co_u32_e32 v10, vcc, v6, v2, vcc
	v_lshlrev_b64 v[1:2], 4, v[3:4]
	v_mov_b32_e32 v4, s15
	v_mov_b32_e32 v3, v12
	v_mad_u64_u32 v[12:13], s[0:1], s37, v5, v[3:4]
	v_add_co_u32_e32 v13, vcc, s14, v1
	v_addc_co_u32_e32 v14, vcc, v4, v2, vcc
	s_movk_i32 s0, 0x3c8
	global_load_dwordx4 v[1:4], v[9:10], off
	global_load_dwordx4 v[5:8], v[13:14], off
	v_mov_b32_e32 v9, 0xfffffc38
	v_mov_b32_e32 v10, 0x16b
	v_cmp_gt_u32_e32 vcc, s0, v0
	v_cndmask_b32_e32 v50, v9, v10, vcc
	v_add_u32_e32 v13, v50, v0
	v_mad_u64_u32 v[9:10], s[0:1], s36, v13, 0
	v_lshlrev_b64 v[11:12], 4, v[11:12]
	v_mov_b32_e32 v15, s15
	v_mad_u64_u32 v[13:14], s[0:1], s37, v13, v[10:11]
	v_add_co_u32_e32 v17, vcc, s14, v11
	v_addc_co_u32_e32 v18, vcc, v15, v12, vcc
	s_movk_i32 s0, 0x3c7
	v_cmp_lt_u32_e32 vcc, s0, v0
	s_movk_i32 s0, 0x34f
	v_mov_b32_e32 v10, v13
	v_mov_b32_e32 v12, 0xfffffcb1
	;; [unrolled: 1-line block ×3, first 2 shown]
	v_cmp_gt_u32_e64 s[0:1], s0, v0
	v_cndmask_b32_e64 v52, v12, v13, s[0:1]
	v_add_u32_e32 v12, v52, v0
	v_mad_u64_u32 v[19:20], s[0:1], s36, v12, 0
	v_lshlrev_b64 v[9:10], 4, v[9:10]
	v_mov_b32_e32 v11, s15
	v_add_co_u32_e64 v13, s[0:1], s14, v9
	v_addc_co_u32_e64 v14, s[0:1], v11, v10, s[0:1]
	v_mov_b32_e32 v11, v20
	v_cndmask_b32_e32 v45, 0, v51, vcc
	v_mad_u64_u32 v[20:21], s[0:1], s37, v12, v[11:12]
	v_lshlrev_b64 v[9:10], 4, v[45:46]
	s_movk_i32 s2, 0x2d6
	v_add_co_u32_e64 v21, s[0:1], v13, v9
	v_addc_co_u32_e64 v22, s[0:1], v14, v10, s[0:1]
	global_load_dwordx4 v[9:12], v[17:18], off
	global_load_dwordx4 v[13:16], v[21:22], off
	v_lshlrev_b64 v[17:18], 4, v[19:20]
	v_mov_b32_e32 v19, 0xfffffd2a
	v_mov_b32_e32 v20, 0x25d
	v_cmp_gt_u32_e64 s[2:3], s2, v0
	v_cndmask_b32_e64 v53, v19, v20, s[2:3]
	v_add_u32_e32 v22, v53, v0
	v_mad_u64_u32 v[19:20], s[2:3], s36, v22, 0
	s_movk_i32 s0, 0x34e
	v_cmp_lt_u32_e64 s[0:1], s0, v0
	v_mov_b32_e32 v21, s15
	v_add_co_u32_e64 v23, s[2:3], s14, v17
	v_cndmask_b32_e64 v45, 0, v51, s[0:1]
	v_addc_co_u32_e64 v24, s[2:3], v21, v18, s[2:3]
	v_mad_u64_u32 v[20:21], s[2:3], s37, v22, v[20:21]
	v_lshlrev_b64 v[17:18], 4, v[45:46]
	s_movk_i32 s4, 0x25d
	v_add_co_u32_e64 v26, s[2:3], v23, v17
	v_addc_co_u32_e64 v27, s[2:3], v24, v18, s[2:3]
	v_lshlrev_b64 v[17:18], 4, v[19:20]
	v_mov_b32_e32 v20, 0xfffffda3
	v_mov_b32_e32 v21, 0x2d6
	v_cmp_gt_u32_e64 s[4:5], s4, v0
	v_cndmask_b32_e64 v54, v20, v21, s[4:5]
	v_add_u32_e32 v20, v54, v0
	v_mad_u64_u32 v[28:29], s[4:5], s36, v20, 0
	s_movk_i32 s2, 0x2d5
	v_cmp_lt_u32_e64 s[2:3], s2, v0
	v_cndmask_b32_e64 v45, 0, v51, s[2:3]
	v_mov_b32_e32 v19, s15
	v_add_co_u32_e64 v23, s[4:5], s14, v17
	v_addc_co_u32_e64 v24, s[4:5], v19, v18, s[4:5]
	v_lshlrev_b64 v[17:18], 4, v[45:46]
	v_mov_b32_e32 v19, v29
	v_mad_u64_u32 v[21:22], s[4:5], s37, v20, v[19:20]
	v_add_co_u32_e64 v29, s[4:5], v23, v17
	v_addc_co_u32_e64 v30, s[4:5], v24, v18, s[4:5]
	global_load_dwordx4 v[17:20], v[26:27], off
	global_load_dwordx4 v[22:25], v[29:30], off
	s_movk_i32 s6, 0x1e4
	v_mov_b32_e32 v29, v21
	v_lshlrev_b64 v[26:27], 4, v[28:29]
	v_mov_b32_e32 v28, 0xfffffe1c
	v_mov_b32_e32 v29, 0x34f
	v_cmp_gt_u32_e64 s[6:7], s6, v0
	v_cndmask_b32_e64 v55, v28, v29, s[6:7]
	v_add_u32_e32 v30, v55, v0
	v_mad_u64_u32 v[28:29], s[6:7], s36, v30, 0
	s_movk_i32 s4, 0x25c
	v_mov_b32_e32 v21, s15
	v_add_co_u32_e64 v31, s[6:7], s14, v26
	v_cmp_lt_u32_e64 s[4:5], s4, v0
	v_addc_co_u32_e64 v32, s[6:7], v21, v27, s[6:7]
	v_mov_b32_e32 v21, v29
	v_cndmask_b32_e64 v45, 0, v51, s[4:5]
	v_lshlrev_b64 v[26:27], 4, v[45:46]
	s_movk_i32 s8, 0x16b
	v_cmp_gt_u32_e64 s[8:9], s8, v0
	s_movk_i32 s10, 0xf2
	v_cmp_gt_u32_e64 s[10:11], s10, v0
	;; [unrolled: 2-line block ×3, first 2 shown]
	s_mov_b32 s22, 0xfd768dbf
	s_mov_b32 s23, 0xbfd207e7
	;; [unrolled: 1-line block ×8, first 2 shown]
	s_movk_i32 s40, 0xb0
	s_mul_i32 s18, s18, s27
	s_waitcnt vmcnt(0)
	v_mad_u64_u32 v[29:30], s[6:7], s37, v30, v[21:22]
	v_add_co_u32_e64 v34, s[6:7], v31, v26
	v_addc_co_u32_e64 v35, s[6:7], v32, v27, s[6:7]
	v_lshlrev_b64 v[26:27], 4, v[28:29]
	v_mov_b32_e32 v28, 0xfffffe95
	v_mov_b32_e32 v29, 0x3c8
	v_cndmask_b32_e64 v56, v28, v29, s[8:9]
	v_add_u32_e32 v28, v56, v0
	v_mad_u64_u32 v[36:37], s[8:9], s36, v28, 0
	s_movk_i32 s6, 0x1e3
	v_mov_b32_e32 v21, s15
	v_add_co_u32_e64 v29, s[8:9], s14, v26
	v_cmp_lt_u32_e64 s[6:7], s6, v0
	v_addc_co_u32_e64 v30, s[8:9], v21, v27, s[8:9]
	v_mov_b32_e32 v21, v37
	v_cndmask_b32_e64 v45, 0, v51, s[6:7]
	v_mad_u64_u32 v[37:38], s[8:9], s37, v28, v[21:22]
	v_lshlrev_b64 v[26:27], 4, v[45:46]
	v_mov_b32_e32 v21, s15
	v_add_co_u32_e64 v38, s[8:9], v29, v26
	v_addc_co_u32_e64 v39, s[8:9], v30, v27, s[8:9]
	global_load_dwordx4 v[26:29], v[34:35], off
	global_load_dwordx4 v[30:33], v[38:39], off
	v_lshlrev_b64 v[34:35], 4, v[36:37]
	v_mov_b32_e32 v36, 0xffffff0e
	v_mov_b32_e32 v37, 0x441
	v_cndmask_b32_e64 v57, v36, v37, s[10:11]
	v_add_u32_e32 v38, v57, v0
	v_mad_u64_u32 v[36:37], s[10:11], s36, v38, 0
	s_movk_i32 s8, 0x16a
	v_add_co_u32_e64 v39, s[10:11], s14, v34
	v_cmp_lt_u32_e64 s[8:9], s8, v0
	v_addc_co_u32_e64 v40, s[10:11], v21, v35, s[10:11]
	v_mov_b32_e32 v21, v37
	v_cndmask_b32_e64 v45, 0, v51, s[8:9]
	v_mad_u64_u32 v[37:38], s[10:11], s37, v38, v[21:22]
	v_lshlrev_b64 v[34:35], 4, v[45:46]
	v_mov_b32_e32 v21, s15
	v_add_co_u32_e64 v42, s[10:11], v39, v34
	v_addc_co_u32_e64 v43, s[10:11], v40, v35, s[10:11]
	v_lshlrev_b64 v[34:35], 4, v[36:37]
	v_mov_b32_e32 v36, 0xffffff87
	v_mov_b32_e32 v37, 0x4ba
	v_cndmask_b32_e64 v58, v36, v37, s[12:13]
	v_add_u32_e32 v36, v58, v0
	v_mad_u64_u32 v[47:48], s[12:13], s36, v36, 0
	s_movk_i32 s10, 0xf1
	v_cmp_lt_u32_e64 s[10:11], s10, v0
	v_add_co_u32_e64 v37, s[12:13], s14, v34
	v_cndmask_b32_e64 v45, 0, v51, s[10:11]
	v_addc_co_u32_e64 v38, s[12:13], v21, v35, s[12:13]
	v_mov_b32_e32 v21, v48
	v_lshlrev_b64 v[34:35], 4, v[45:46]
	v_mad_u64_u32 v[44:45], s[12:13], s37, v36, v[21:22]
	v_add_co_u32_e64 v48, s[12:13], v37, v34
	v_addc_co_u32_e64 v49, s[12:13], v38, v35, s[12:13]
	global_load_dwordx4 v[34:37], v[42:43], off
	global_load_dwordx4 v[38:41], v[48:49], off
	v_mov_b32_e32 v48, v44
	s_movk_i32 s12, 0x78
	v_lshlrev_b64 v[42:43], 4, v[47:48]
	v_cmp_lt_u32_e64 s[12:13], s12, v0
	v_cndmask_b32_e64 v45, 0, v51, s[12:13]
	v_mov_b32_e32 v21, s15
	v_add_co_u32_e64 v44, s[14:15], s14, v42
	v_addc_co_u32_e64 v21, s[14:15], v21, v43, s[14:15]
	v_lshlrev_b64 v[42:43], 4, v[45:46]
	s_mov_b32 s37, 0x3fefac9e
	v_add_co_u32_e64 v42, s[14:15], v44, v42
	v_addc_co_u32_e64 v43, s[14:15], v21, v43, s[14:15]
	global_load_dwordx4 v[42:45], v[42:43], off
	v_lshl_add_u32 v21, v0, 4, 0
	ds_write_b128 v21, v[1:4]
	ds_write_b128 v21, v[5:8] offset:1936
	ds_write_b128 v21, v[9:12] offset:3872
	v_cndmask_b32_e64 v1, 0, 1, vcc
	v_lshlrev_b32_e32 v2, 4, v50
	v_lshlrev_b32_e32 v1, 4, v1
	v_add3_u32 v1, v21, v2, v1
	ds_write_b128 v1, v[13:16]
	v_cndmask_b32_e64 v1, 0, 1, s[0:1]
	v_lshlrev_b32_e32 v2, 4, v52
	v_lshlrev_b32_e32 v1, 4, v1
	v_add3_u32 v1, v21, v2, v1
	ds_write_b128 v1, v[17:20]
	v_cndmask_b32_e64 v1, 0, 1, s[2:3]
	;; [unrolled: 5-line block ×3, first 2 shown]
	v_lshlrev_b32_e32 v2, 4, v54
	v_lshlrev_b32_e32 v1, 4, v1
	v_add3_u32 v1, v21, v2, v1
	s_waitcnt vmcnt(4)
	ds_write_b128 v1, v[26:29]
	v_cndmask_b32_e64 v1, 0, 1, s[6:7]
	v_lshlrev_b32_e32 v2, 4, v55
	v_lshlrev_b32_e32 v1, 4, v1
	v_add3_u32 v1, v21, v2, v1
	s_waitcnt vmcnt(3)
	ds_write_b128 v1, v[30:33]
	v_cndmask_b32_e64 v1, 0, 1, s[8:9]
	v_lshlrev_b32_e32 v2, 4, v56
	v_lshlrev_b32_e32 v1, 4, v1
	v_add3_u32 v1, v21, v2, v1
	v_lshlrev_b32_e32 v2, 4, v57
	s_mov_b32 s4, 0x43842ef
	s_mov_b32 s8, 0xbb3a28a1
	;; [unrolled: 1-line block ×13, first 2 shown]
	s_waitcnt vmcnt(2)
	ds_write_b128 v1, v[34:37]
	v_cndmask_b32_e64 v1, 0, 1, s[10:11]
	v_lshlrev_b32_e32 v1, 4, v1
	v_add3_u32 v1, v21, v2, v1
	s_waitcnt vmcnt(1)
	ds_write_b128 v1, v[38:41]
	v_cndmask_b32_e64 v1, 0, 1, s[12:13]
	v_lshlrev_b32_e32 v2, 4, v58
	v_lshlrev_b32_e32 v1, 4, v1
	v_add3_u32 v1, v21, v2, v1
	s_mov_b32 s10, 0xf8bb580b
	s_mov_b32 s12, 0x8eee2c13
	;; [unrolled: 1-line block ×6, first 2 shown]
	s_waitcnt vmcnt(0)
	ds_write_b128 v1, v[42:45]
	s_waitcnt lgkmcnt(0)
	s_barrier
	ds_read_b128 v[13:16], v21
	ds_read_b128 v[17:20], v21 offset:1936
	ds_read_b128 v[22:25], v21 offset:3872
	;; [unrolled: 1-line block ×9, first 2 shown]
	s_waitcnt lgkmcnt(8)
	v_add_f64 v[1:2], v[13:14], v[17:18]
	v_add_f64 v[3:4], v[15:16], v[19:20]
	ds_read_b128 v[47:50], v21 offset:19360
	s_waitcnt lgkmcnt(0)
	v_add_f64 v[67:68], v[24:25], v[44:45]
	v_add_f64 v[65:66], v[22:23], v[42:43]
	s_barrier
	v_add_f64 v[51:52], v[19:20], -v[49:50]
	v_add_f64 v[1:2], v[1:2], v[22:23]
	v_add_f64 v[3:4], v[3:4], v[24:25]
	;; [unrolled: 1-line block ×3, first 2 shown]
	v_add_f64 v[17:18], v[17:18], -v[47:48]
	v_add_f64 v[19:20], v[19:20], v[49:50]
	v_add_f64 v[24:25], v[24:25], -v[44:45]
	v_add_f64 v[22:23], v[22:23], -v[42:43]
	v_mul_f64 v[55:56], v[51:52], s[10:11]
	v_add_f64 v[1:2], v[1:2], v[26:27]
	v_add_f64 v[3:4], v[3:4], v[28:29]
	v_mul_f64 v[61:62], v[51:52], s[4:5]
	v_mul_f64 v[57:58], v[17:18], s[10:11]
	;; [unrolled: 1-line block ×6, first 2 shown]
	v_add_f64 v[1:2], v[1:2], v[30:31]
	v_add_f64 v[3:4], v[3:4], v[32:33]
	v_mul_f64 v[89:90], v[24:25], s[38:39]
	v_fma_f64 v[75:76], v[19:20], s[6:7], v[57:58]
	v_fma_f64 v[57:58], v[19:20], s[6:7], -v[57:58]
	v_fma_f64 v[77:78], v[19:20], s[0:1], v[69:70]
	v_fma_f64 v[69:70], v[19:20], s[0:1], -v[69:70]
	v_fma_f64 v[79:80], v[19:20], s[2:3], v[73:74]
	v_add_f64 v[1:2], v[1:2], v[5:6]
	v_add_f64 v[3:4], v[3:4], v[7:8]
	v_fma_f64 v[73:74], v[19:20], s[2:3], -v[73:74]
	v_mul_f64 v[95:96], v[22:23], s[38:39]
	v_add_f64 v[57:58], v[15:16], v[57:58]
	v_fma_f64 v[93:94], v[65:66], s[20:21], -v[89:90]
	v_add_f64 v[69:70], v[15:16], v[69:70]
	v_add_f64 v[79:80], v[15:16], v[79:80]
	;; [unrolled: 1-line block ×12, first 2 shown]
	v_add_f64 v[28:29], v[28:29], -v[40:41]
	v_add_f64 v[40:41], v[32:33], v[36:37]
	v_add_f64 v[32:33], v[32:33], -v[36:37]
	v_mul_f64 v[36:37], v[51:52], s[22:23]
	v_add_f64 v[42:43], v[26:27], v[38:39]
	v_add_f64 v[1:2], v[1:2], v[47:48]
	v_mul_f64 v[47:48], v[51:52], s[12:13]
	v_add_f64 v[3:4], v[3:4], v[49:50]
	v_fma_f64 v[49:50], v[53:54], s[6:7], -v[55:56]
	v_fma_f64 v[55:56], v[53:54], s[6:7], v[55:56]
	v_add_f64 v[26:27], v[26:27], -v[38:39]
	v_add_f64 v[38:39], v[30:31], v[34:35]
	v_add_f64 v[30:31], v[30:31], -v[34:35]
	v_fma_f64 v[34:35], v[53:54], s[2:3], -v[61:62]
	v_fma_f64 v[59:60], v[53:54], s[0:1], -v[47:48]
	v_fma_f64 v[47:48], v[53:54], s[0:1], v[47:48]
	v_fma_f64 v[51:52], v[53:54], s[2:3], v[61:62]
	v_fma_f64 v[61:62], v[53:54], s[14:15], -v[63:64]
	v_fma_f64 v[63:64], v[53:54], s[14:15], v[63:64]
	v_fma_f64 v[71:72], v[53:54], s[20:21], -v[36:37]
	v_fma_f64 v[36:37], v[53:54], s[20:21], v[36:37]
	v_mul_f64 v[53:54], v[17:18], s[8:9]
	v_mul_f64 v[17:18], v[17:18], s[22:23]
	v_add_f64 v[55:56], v[13:14], v[55:56]
	v_add_f64 v[59:60], v[13:14], v[59:60]
	;; [unrolled: 1-line block ×6, first 2 shown]
	v_fma_f64 v[81:82], v[19:20], s[14:15], v[53:54]
	v_fma_f64 v[53:54], v[19:20], s[14:15], -v[53:54]
	v_fma_f64 v[83:84], v[19:20], s[20:21], v[17:18]
	v_fma_f64 v[17:18], v[19:20], s[20:21], -v[17:18]
	v_add_f64 v[19:20], v[13:14], v[49:50]
	v_add_f64 v[49:50], v[15:16], v[75:76]
	;; [unrolled: 1-line block ×3, first 2 shown]
	v_mul_f64 v[77:78], v[24:25], s[12:13]
	v_add_f64 v[81:82], v[15:16], v[81:82]
	v_add_f64 v[63:64], v[13:14], v[63:64]
	;; [unrolled: 1-line block ×6, first 2 shown]
	v_fma_f64 v[36:37], v[67:68], s[0:1], v[85:86]
	v_fma_f64 v[87:88], v[65:66], s[0:1], -v[77:78]
	v_add_f64 v[15:16], v[15:16], v[17:18]
	v_add_f64 v[34:35], v[93:94], v[34:35]
	;; [unrolled: 1-line block ×4, first 2 shown]
	v_mul_f64 v[19:20], v[24:25], s[8:9]
	v_mul_f64 v[87:88], v[22:23], s[8:9]
	v_fma_f64 v[49:50], v[65:66], s[0:1], v[77:78]
	v_fma_f64 v[77:78], v[67:68], s[0:1], -v[85:86]
	v_fma_f64 v[85:86], v[65:66], s[14:15], -v[19:20]
	v_fma_f64 v[91:92], v[67:68], s[14:15], v[87:88]
	v_fma_f64 v[19:20], v[65:66], s[14:15], v[19:20]
	v_fma_f64 v[87:88], v[67:68], s[14:15], -v[87:88]
	v_add_f64 v[49:50], v[49:50], v[55:56]
	v_add_f64 v[55:56], v[77:78], v[57:58]
	v_fma_f64 v[77:78], v[67:68], s[20:21], -v[95:96]
	v_add_f64 v[57:58], v[85:86], v[59:60]
	v_add_f64 v[59:60], v[91:92], v[75:76]
	;; [unrolled: 1-line block ×4, first 2 shown]
	v_fma_f64 v[75:76], v[65:66], s[20:21], v[89:90]
	v_mul_f64 v[85:86], v[24:25], s[36:37]
	v_mul_f64 v[87:88], v[22:23], s[36:37]
	v_fma_f64 v[69:70], v[67:68], s[20:21], v[95:96]
	v_mul_f64 v[24:25], v[24:25], s[28:29]
	v_add_f64 v[73:74], v[77:78], v[73:74]
	v_mul_f64 v[22:23], v[22:23], s[28:29]
	v_mul_f64 v[91:92], v[26:27], s[4:5]
	v_add_f64 v[51:52], v[75:76], v[51:52]
	v_fma_f64 v[75:76], v[65:66], s[2:3], -v[85:86]
	v_fma_f64 v[77:78], v[65:66], s[2:3], v[85:86]
	v_fma_f64 v[85:86], v[67:68], s[2:3], v[87:88]
	v_add_f64 v[69:70], v[69:70], v[79:80]
	v_fma_f64 v[79:80], v[65:66], s[6:7], -v[24:25]
	v_fma_f64 v[24:25], v[65:66], s[6:7], v[24:25]
	v_fma_f64 v[65:66], v[67:68], s[2:3], -v[87:88]
	v_fma_f64 v[87:88], v[67:68], s[6:7], v[22:23]
	v_fma_f64 v[22:23], v[67:68], s[6:7], -v[22:23]
	v_mul_f64 v[89:90], v[28:29], s[4:5]
	v_add_f64 v[67:68], v[85:86], v[81:82]
	v_fma_f64 v[81:82], v[44:45], s[2:3], v[91:92]
	v_add_f64 v[61:62], v[75:76], v[61:62]
	v_add_f64 v[13:14], v[24:25], v[13:14]
	v_mul_f64 v[24:25], v[28:29], s[38:39]
	v_add_f64 v[63:64], v[77:78], v[63:64]
	v_add_f64 v[15:16], v[22:23], v[15:16]
	v_fma_f64 v[75:76], v[42:43], s[2:3], -v[89:90]
	v_fma_f64 v[77:78], v[44:45], s[2:3], -v[91:92]
	v_add_f64 v[22:23], v[81:82], v[36:37]
	v_mul_f64 v[36:37], v[26:27], s[38:39]
	v_mul_f64 v[81:82], v[26:27], s[34:35]
	v_add_f64 v[53:54], v[65:66], v[53:54]
	v_add_f64 v[65:66], v[79:80], v[71:72]
	;; [unrolled: 1-line block ×4, first 2 shown]
	v_fma_f64 v[75:76], v[42:43], s[2:3], v[89:90]
	v_mul_f64 v[79:80], v[28:29], s[34:35]
	v_fma_f64 v[85:86], v[44:45], s[20:21], v[36:37]
	v_fma_f64 v[83:84], v[42:43], s[20:21], -v[24:25]
	v_add_f64 v[55:56], v[77:78], v[55:56]
	v_fma_f64 v[24:25], v[42:43], s[20:21], v[24:25]
	v_fma_f64 v[36:37], v[44:45], s[20:21], -v[36:37]
	v_fma_f64 v[77:78], v[44:45], s[0:1], v[81:82]
	v_add_f64 v[49:50], v[75:76], v[49:50]
	v_fma_f64 v[75:76], v[42:43], s[0:1], -v[79:80]
	v_add_f64 v[59:60], v[85:86], v[59:60]
	v_mul_f64 v[85:86], v[26:27], s[10:11]
	v_add_f64 v[57:58], v[83:84], v[57:58]
	v_mul_f64 v[83:84], v[28:29], s[10:11]
	v_add_f64 v[19:20], v[24:25], v[19:20]
	v_add_f64 v[24:25], v[36:37], v[47:48]
	v_add_f64 v[36:37], v[77:78], v[69:70]
	v_fma_f64 v[47:48], v[42:43], s[0:1], v[79:80]
	v_fma_f64 v[69:70], v[44:45], s[0:1], -v[81:82]
	v_fma_f64 v[77:78], v[44:45], s[6:7], v[85:86]
	v_mul_f64 v[28:29], v[28:29], s[8:9]
	v_mul_f64 v[26:27], v[26:27], s[8:9]
	v_add_f64 v[34:35], v[75:76], v[34:35]
	v_fma_f64 v[75:76], v[42:43], s[6:7], -v[83:84]
	v_fma_f64 v[79:80], v[42:43], s[6:7], v[83:84]
	v_add_f64 v[47:48], v[47:48], v[51:52]
	v_add_f64 v[51:52], v[69:70], v[73:74]
	;; [unrolled: 1-line block ×3, first 2 shown]
	v_fma_f64 v[69:70], v[42:43], s[14:15], -v[28:29]
	v_fma_f64 v[73:74], v[44:45], s[14:15], v[26:27]
	v_mul_f64 v[77:78], v[30:31], s[8:9]
	v_add_f64 v[61:62], v[75:76], v[61:62]
	v_mul_f64 v[75:76], v[32:33], s[8:9]
	v_fma_f64 v[81:82], v[44:45], s[6:7], -v[85:86]
	v_fma_f64 v[28:29], v[42:43], s[14:15], v[28:29]
	v_fma_f64 v[26:27], v[44:45], s[14:15], -v[26:27]
	v_add_f64 v[42:43], v[69:70], v[65:66]
	v_add_f64 v[44:45], v[73:74], v[71:72]
	v_mul_f64 v[69:70], v[30:31], s[36:37]
	v_fma_f64 v[73:74], v[40:41], s[14:15], v[77:78]
	v_mul_f64 v[65:66], v[32:33], s[36:37]
	v_fma_f64 v[71:72], v[38:39], s[14:15], -v[75:76]
	v_add_f64 v[13:14], v[28:29], v[13:14]
	v_fma_f64 v[28:29], v[40:41], s[14:15], -v[77:78]
	v_add_f64 v[15:16], v[26:27], v[15:16]
	v_fma_f64 v[26:27], v[38:39], s[14:15], v[75:76]
	v_fma_f64 v[77:78], v[40:41], s[2:3], v[69:70]
	v_add_f64 v[22:23], v[73:74], v[22:23]
	v_mul_f64 v[73:74], v[30:31], s[10:11]
	v_fma_f64 v[75:76], v[38:39], s[2:3], -v[65:66]
	v_add_f64 v[17:18], v[71:72], v[17:18]
	v_mul_f64 v[71:72], v[32:33], s[10:11]
	v_add_f64 v[28:29], v[28:29], v[55:56]
	v_add_f64 v[26:27], v[26:27], v[49:50]
	;; [unrolled: 1-line block ×3, first 2 shown]
	v_fma_f64 v[59:60], v[40:41], s[2:3], -v[69:70]
	v_fma_f64 v[69:70], v[40:41], s[6:7], v[73:74]
	v_fma_f64 v[73:74], v[40:41], s[6:7], -v[73:74]
	v_mul_f64 v[77:78], v[30:31], s[22:23]
	v_add_f64 v[49:50], v[75:76], v[57:58]
	v_fma_f64 v[57:58], v[38:39], s[2:3], v[65:66]
	v_fma_f64 v[65:66], v[38:39], s[6:7], -v[71:72]
	v_fma_f64 v[71:72], v[38:39], s[6:7], v[71:72]
	v_mul_f64 v[75:76], v[32:33], s[22:23]
	v_add_f64 v[24:25], v[59:60], v[24:25]
	v_add_f64 v[51:52], v[73:74], v[51:52]
	v_fma_f64 v[59:60], v[40:41], s[20:21], v[77:78]
	v_add_f64 v[73:74], v[5:6], -v[9:10]
	v_add_f64 v[19:20], v[57:58], v[19:20]
	v_mul_f64 v[30:31], v[30:31], s[34:35]
	v_add_f64 v[47:48], v[71:72], v[47:48]
	v_fma_f64 v[57:58], v[38:39], s[20:21], -v[75:76]
	v_add_f64 v[71:72], v[7:8], -v[11:12]
	v_add_f64 v[63:64], v[79:80], v[63:64]
	v_add_f64 v[59:60], v[59:60], v[67:68]
	;; [unrolled: 1-line block ×3, first 2 shown]
	v_mul_f64 v[11:12], v[73:74], s[22:23]
	v_add_f64 v[53:54], v[81:82], v[53:54]
	v_add_f64 v[34:35], v[65:66], v[34:35]
	;; [unrolled: 1-line block ×3, first 2 shown]
	v_fma_f64 v[65:66], v[38:39], s[20:21], v[75:76]
	v_fma_f64 v[69:70], v[40:41], s[20:21], -v[77:78]
	v_mul_f64 v[32:33], v[32:33], s[34:35]
	v_add_f64 v[57:58], v[57:58], v[61:62]
	v_add_f64 v[61:62], v[5:6], v[9:10]
	v_mul_f64 v[9:10], v[71:72], s[22:23]
	v_fma_f64 v[7:8], v[40:41], s[0:1], v[30:31]
	v_fma_f64 v[30:31], v[40:41], s[0:1], -v[30:31]
	v_fma_f64 v[40:41], v[67:68], s[20:21], v[11:12]
	v_add_f64 v[63:64], v[65:66], v[63:64]
	v_fma_f64 v[5:6], v[38:39], s[0:1], -v[32:33]
	v_add_f64 v[53:54], v[69:70], v[53:54]
	v_fma_f64 v[32:33], v[38:39], s[0:1], v[32:33]
	v_fma_f64 v[38:39], v[61:62], s[20:21], -v[9:10]
	v_mul_f64 v[65:66], v[71:72], s[28:29]
	v_mul_f64 v[69:70], v[73:74], s[28:29]
	v_add_f64 v[44:45], v[7:8], v[44:45]
	v_add_f64 v[77:78], v[30:31], v[15:16]
	;; [unrolled: 1-line block ×3, first 2 shown]
	v_fma_f64 v[9:10], v[61:62], s[20:21], v[9:10]
	v_fma_f64 v[11:12], v[67:68], s[20:21], -v[11:12]
	v_mul_f64 v[22:23], v[71:72], s[8:9]
	v_mul_f64 v[30:31], v[73:74], s[8:9]
	v_add_f64 v[42:43], v[5:6], v[42:43]
	v_add_f64 v[75:76], v[32:33], v[13:14]
	;; [unrolled: 1-line block ×3, first 2 shown]
	v_fma_f64 v[17:18], v[61:62], s[6:7], v[65:66]
	v_fma_f64 v[32:33], v[67:68], s[6:7], -v[69:70]
	v_add_f64 v[9:10], v[9:10], v[26:27]
	v_add_f64 v[11:12], v[11:12], v[28:29]
	v_fma_f64 v[26:27], v[61:62], s[14:15], -v[22:23]
	v_fma_f64 v[28:29], v[67:68], s[14:15], v[30:31]
	v_fma_f64 v[30:31], v[67:68], s[14:15], -v[30:31]
	v_mul_f64 v[38:39], v[71:72], s[34:35]
	v_add_f64 v[17:18], v[17:18], v[19:20]
	v_add_f64 v[19:20], v[32:33], v[24:25]
	v_fma_f64 v[32:33], v[61:62], s[14:15], v[22:23]
	v_mul_f64 v[40:41], v[73:74], s[34:35]
	v_fma_f64 v[13:14], v[61:62], s[6:7], -v[65:66]
	v_add_f64 v[22:23], v[26:27], v[34:35]
	v_add_f64 v[24:25], v[28:29], v[36:37]
	v_mul_f64 v[34:35], v[71:72], s[4:5]
	v_mul_f64 v[36:37], v[73:74], s[4:5]
	v_fma_f64 v[15:16], v[67:68], s[6:7], v[69:70]
	v_add_f64 v[26:27], v[32:33], v[47:48]
	v_add_f64 v[28:29], v[30:31], v[51:52]
	v_fma_f64 v[30:31], v[61:62], s[0:1], -v[38:39]
	v_fma_f64 v[32:33], v[67:68], s[0:1], v[40:41]
	v_add_f64 v[13:14], v[13:14], v[49:50]
	v_fma_f64 v[38:39], v[61:62], s[0:1], v[38:39]
	v_fma_f64 v[40:41], v[67:68], s[0:1], -v[40:41]
	v_fma_f64 v[47:48], v[61:62], s[2:3], -v[34:35]
	v_fma_f64 v[49:50], v[67:68], s[2:3], v[36:37]
	v_add_f64 v[15:16], v[15:16], v[55:56]
	v_fma_f64 v[51:52], v[61:62], s[2:3], v[34:35]
	v_fma_f64 v[55:56], v[67:68], s[2:3], -v[36:37]
	v_add_f64 v[30:31], v[30:31], v[57:58]
	v_add_f64 v[32:33], v[32:33], v[59:60]
	;; [unrolled: 1-line block ×8, first 2 shown]
	v_mad_u32_u24 v47, v0, s40, 0
	ds_write_b128 v47, v[1:4]
	ds_write_b128 v47, v[5:8] offset:16
	ds_write_b128 v47, v[13:16] offset:32
	;; [unrolled: 1-line block ×10, first 2 shown]
	v_mul_u32_u24_e32 v22, 0x1746, v0
	v_mov_b32_e32 v1, 11
	v_mul_lo_u16_sdwa v1, v22, v1 dst_sel:DWORD dst_unused:UNUSED_PAD src0_sel:WORD_1 src1_sel:DWORD
	v_sub_u16_e32 v23, v0, v1
	v_mul_u32_u24_e32 v1, 10, v23
	v_lshlrev_b32_e32 v44, 4, v1
	s_waitcnt lgkmcnt(0)
	s_barrier
	global_load_dwordx4 v[1:4], v44, s[16:17]
	global_load_dwordx4 v[5:8], v44, s[16:17] offset:16
	global_load_dwordx4 v[9:12], v44, s[16:17] offset:32
	;; [unrolled: 1-line block ×9, first 2 shown]
	ds_read_b128 v[47:50], v21 offset:1936
	ds_read_b128 v[51:54], v21
	ds_read_b128 v[55:58], v21 offset:3872
	ds_read_b128 v[59:62], v21 offset:5808
	s_movk_i32 s40, 0x790
	v_mul_u32_u24_sdwa v22, v22, s40 dst_sel:DWORD dst_unused:UNUSED_PAD src0_sel:WORD_1 src1_sel:DWORD
	v_lshlrev_b32_e32 v23, 4, v23
	v_add3_u32 v22, 0, v22, v23
	s_waitcnt vmcnt(9) lgkmcnt(3)
	v_mul_f64 v[44:45], v[49:50], v[3:4]
	v_mul_f64 v[3:4], v[47:48], v[3:4]
	s_waitcnt vmcnt(8) lgkmcnt(1)
	v_mul_f64 v[63:64], v[57:58], v[7:8]
	v_mul_f64 v[7:8], v[55:56], v[7:8]
	v_fma_f64 v[44:45], v[47:48], v[1:2], -v[44:45]
	v_fma_f64 v[65:66], v[49:50], v[1:2], v[3:4]
	s_waitcnt vmcnt(7) lgkmcnt(0)
	v_mul_f64 v[47:48], v[61:62], v[11:12]
	v_mul_f64 v[11:12], v[59:60], v[11:12]
	v_fma_f64 v[55:56], v[55:56], v[5:6], -v[63:64]
	ds_read_b128 v[1:4], v21 offset:7744
	v_fma_f64 v[57:58], v[57:58], v[5:6], v[7:8]
	ds_read_b128 v[5:8], v21 offset:9680
	v_add_f64 v[49:50], v[51:52], v[44:45]
	v_add_f64 v[63:64], v[53:54], v[65:66]
	s_waitcnt vmcnt(6) lgkmcnt(1)
	v_mul_f64 v[67:68], v[3:4], v[15:16]
	v_fma_f64 v[59:60], v[59:60], v[9:10], -v[47:48]
	v_fma_f64 v[61:62], v[61:62], v[9:10], v[11:12]
	v_mul_f64 v[69:70], v[1:2], v[15:16]
	v_add_f64 v[9:10], v[49:50], v[55:56]
	v_add_f64 v[11:12], v[63:64], v[57:58]
	v_fma_f64 v[15:16], v[1:2], v[13:14], -v[67:68]
	s_waitcnt vmcnt(5) lgkmcnt(0)
	v_mul_f64 v[63:64], v[7:8], v[19:20]
	v_mul_f64 v[19:20], v[5:6], v[19:20]
	v_fma_f64 v[13:14], v[3:4], v[13:14], v[69:70]
	ds_read_b128 v[1:4], v21 offset:11616
	ds_read_b128 v[47:50], v21 offset:13552
	v_add_f64 v[9:10], v[9:10], v[59:60]
	v_add_f64 v[11:12], v[11:12], v[61:62]
	s_waitcnt vmcnt(4) lgkmcnt(1)
	v_mul_f64 v[67:68], v[3:4], v[26:27]
	v_fma_f64 v[5:6], v[5:6], v[17:18], -v[63:64]
	v_fma_f64 v[7:8], v[7:8], v[17:18], v[19:20]
	v_mul_f64 v[26:27], v[1:2], v[26:27]
	s_waitcnt vmcnt(3) lgkmcnt(0)
	v_mul_f64 v[63:64], v[49:50], v[30:31]
	v_add_f64 v[17:18], v[9:10], v[15:16]
	v_add_f64 v[19:20], v[11:12], v[13:14]
	v_mul_f64 v[30:31], v[47:48], v[30:31]
	v_fma_f64 v[9:10], v[1:2], v[24:25], -v[67:68]
	v_fma_f64 v[11:12], v[3:4], v[24:25], v[26:27]
	ds_read_b128 v[1:4], v21 offset:15488
	ds_read_b128 v[24:27], v21 offset:17424
	v_add_f64 v[67:68], v[17:18], v[5:6]
	v_add_f64 v[69:70], v[19:20], v[7:8]
	v_fma_f64 v[19:20], v[47:48], v[28:29], -v[63:64]
	s_waitcnt vmcnt(2) lgkmcnt(1)
	v_mul_f64 v[71:72], v[3:4], v[34:35]
	v_mul_f64 v[34:35], v[1:2], v[34:35]
	v_fma_f64 v[17:18], v[49:50], v[28:29], v[30:31]
	ds_read_b128 v[28:31], v21 offset:19360
	s_waitcnt lgkmcnt(0)
	v_add_f64 v[47:48], v[67:68], v[9:10]
	v_add_f64 v[49:50], v[69:70], v[11:12]
	s_waitcnt vmcnt(0)
	s_barrier
	v_fma_f64 v[63:64], v[1:2], v[32:33], -v[71:72]
	v_mul_f64 v[1:2], v[26:27], v[38:39]
	v_fma_f64 v[32:33], v[3:4], v[32:33], v[34:35]
	v_mul_f64 v[3:4], v[28:29], v[42:43]
	v_mul_f64 v[38:39], v[24:25], v[38:39]
	v_add_f64 v[34:35], v[47:48], v[19:20]
	v_add_f64 v[47:48], v[49:50], v[17:18]
	v_fma_f64 v[24:25], v[24:25], v[36:37], -v[1:2]
	v_mul_f64 v[1:2], v[30:31], v[42:43]
	v_fma_f64 v[30:31], v[30:31], v[40:41], v[3:4]
	v_fma_f64 v[26:27], v[26:27], v[36:37], v[38:39]
	v_add_f64 v[3:4], v[34:35], v[63:64]
	v_add_f64 v[34:35], v[47:48], v[32:33]
	v_add_f64 v[87:88], v[55:56], -v[24:25]
	v_fma_f64 v[28:29], v[28:29], v[40:41], -v[1:2]
	v_add_f64 v[36:37], v[65:66], -v[30:31]
	v_add_f64 v[1:2], v[3:4], v[24:25]
	v_add_f64 v[3:4], v[34:35], v[26:27]
	;; [unrolled: 1-line block ×3, first 2 shown]
	v_mul_f64 v[95:96], v[87:88], s[38:39]
	v_add_f64 v[34:35], v[44:45], v[28:29]
	v_mul_f64 v[38:39], v[36:37], s[10:11]
	v_mul_f64 v[40:41], v[36:37], s[12:13]
	v_add_f64 v[1:2], v[1:2], v[28:29]
	v_add_f64 v[28:29], v[44:45], -v[28:29]
	v_add_f64 v[3:4], v[3:4], v[30:31]
	v_add_f64 v[30:31], v[65:66], v[30:31]
	v_mul_f64 v[42:43], v[36:37], s[4:5]
	v_mul_f64 v[44:45], v[36:37], s[8:9]
	;; [unrolled: 1-line block ×3, first 2 shown]
	v_fma_f64 v[47:48], v[34:35], s[6:7], -v[38:39]
	v_fma_f64 v[38:39], v[34:35], s[6:7], v[38:39]
	v_mul_f64 v[69:70], v[28:29], s[10:11]
	v_mul_f64 v[71:72], v[28:29], s[12:13]
	v_fma_f64 v[49:50], v[34:35], s[0:1], -v[40:41]
	v_fma_f64 v[40:41], v[34:35], s[0:1], v[40:41]
	v_fma_f64 v[65:66], v[34:35], s[2:3], -v[42:43]
	v_fma_f64 v[42:43], v[34:35], s[2:3], v[42:43]
	;; [unrolled: 2-line block ×3, first 2 shown]
	v_fma_f64 v[73:74], v[34:35], s[20:21], -v[36:37]
	v_mul_f64 v[75:76], v[28:29], s[4:5]
	v_fma_f64 v[34:35], v[34:35], s[20:21], v[36:37]
	v_mul_f64 v[36:37], v[28:29], s[8:9]
	v_mul_f64 v[28:29], v[28:29], s[22:23]
	v_fma_f64 v[77:78], v[30:31], s[6:7], v[69:70]
	v_fma_f64 v[79:80], v[30:31], s[0:1], v[71:72]
	v_fma_f64 v[69:70], v[30:31], s[6:7], -v[69:70]
	v_fma_f64 v[71:72], v[30:31], s[0:1], -v[71:72]
	v_fma_f64 v[81:82], v[30:31], s[2:3], v[75:76]
	v_fma_f64 v[75:76], v[30:31], s[2:3], -v[75:76]
	v_fma_f64 v[83:84], v[30:31], s[14:15], v[36:37]
	;; [unrolled: 2-line block ×3, first 2 shown]
	v_fma_f64 v[28:29], v[30:31], s[20:21], -v[28:29]
	v_add_f64 v[30:31], v[51:52], v[47:48]
	v_add_f64 v[47:48], v[53:54], v[77:78]
	;; [unrolled: 1-line block ×3, first 2 shown]
	v_add_f64 v[79:80], v[57:58], -v[26:27]
	v_add_f64 v[26:27], v[57:58], v[26:27]
	v_mul_f64 v[57:58], v[87:88], s[12:13]
	v_add_f64 v[38:39], v[51:52], v[38:39]
	v_add_f64 v[69:70], v[53:54], v[69:70]
	;; [unrolled: 1-line block ×5, first 2 shown]
	v_mul_f64 v[55:56], v[79:80], s[12:13]
	v_add_f64 v[65:66], v[51:52], v[65:66]
	v_add_f64 v[81:82], v[53:54], v[81:82]
	;; [unrolled: 1-line block ×7, first 2 shown]
	v_fma_f64 v[89:90], v[24:25], s[0:1], -v[55:56]
	v_add_f64 v[36:37], v[53:54], v[36:37]
	v_add_f64 v[73:74], v[51:52], v[73:74]
	;; [unrolled: 1-line block ×3, first 2 shown]
	v_mul_f64 v[91:92], v[79:80], s[8:9]
	v_fma_f64 v[93:94], v[26:27], s[0:1], v[57:58]
	v_add_f64 v[34:35], v[51:52], v[34:35]
	v_mul_f64 v[51:52], v[87:88], s[8:9]
	v_add_f64 v[28:29], v[53:54], v[28:29]
	v_add_f64 v[30:31], v[89:90], v[30:31]
	v_fma_f64 v[53:54], v[24:25], s[0:1], v[55:56]
	v_fma_f64 v[55:56], v[26:27], s[0:1], -v[57:58]
	v_mul_f64 v[89:90], v[79:80], s[38:39]
	v_fma_f64 v[57:58], v[24:25], s[14:15], -v[91:92]
	v_add_f64 v[47:48], v[93:94], v[47:48]
	v_fma_f64 v[93:94], v[26:27], s[14:15], v[51:52]
	v_fma_f64 v[91:92], v[24:25], s[14:15], v[91:92]
	v_fma_f64 v[51:52], v[26:27], s[14:15], -v[51:52]
	v_add_f64 v[38:39], v[53:54], v[38:39]
	v_add_f64 v[53:54], v[55:56], v[69:70]
	v_fma_f64 v[55:56], v[24:25], s[20:21], -v[89:90]
	v_add_f64 v[49:50], v[57:58], v[49:50]
	v_fma_f64 v[69:70], v[26:27], s[20:21], v[95:96]
	v_add_f64 v[57:58], v[93:94], v[77:78]
	v_add_f64 v[40:41], v[91:92], v[40:41]
	v_fma_f64 v[77:78], v[24:25], s[20:21], v[89:90]
	v_fma_f64 v[89:90], v[26:27], s[20:21], -v[95:96]
	v_mul_f64 v[91:92], v[79:80], s[36:37]
	v_add_f64 v[51:52], v[51:52], v[71:72]
	v_add_f64 v[55:56], v[55:56], v[65:66]
	v_mul_f64 v[65:66], v[79:80], s[28:29]
	v_mul_f64 v[71:72], v[87:88], s[36:37]
	v_add_f64 v[69:70], v[69:70], v[81:82]
	v_add_f64 v[42:43], v[77:78], v[42:43]
	;; [unrolled: 1-line block ×3, first 2 shown]
	v_fma_f64 v[77:78], v[24:25], s[2:3], -v[91:92]
	v_mul_f64 v[79:80], v[87:88], s[28:29]
	v_fma_f64 v[81:82], v[24:25], s[2:3], v[91:92]
	v_fma_f64 v[87:88], v[24:25], s[6:7], -v[65:66]
	v_fma_f64 v[89:90], v[26:27], s[2:3], v[71:72]
	v_fma_f64 v[24:25], v[24:25], s[6:7], v[65:66]
	v_fma_f64 v[65:66], v[26:27], s[2:3], -v[71:72]
	v_add_f64 v[71:72], v[61:62], -v[32:33]
	v_add_f64 v[91:92], v[59:60], -v[63:64]
	v_fma_f64 v[93:94], v[26:27], s[6:7], v[79:80]
	v_fma_f64 v[26:27], v[26:27], s[6:7], -v[79:80]
	v_add_f64 v[32:33], v[61:62], v[32:33]
	v_add_f64 v[59:60], v[59:60], v[63:64]
	;; [unrolled: 1-line block ×4, first 2 shown]
	v_mul_f64 v[61:62], v[71:72], s[4:5]
	v_mul_f64 v[63:64], v[91:92], s[4:5]
	;; [unrolled: 1-line block ×3, first 2 shown]
	v_add_f64 v[77:78], v[89:90], v[83:84]
	v_add_f64 v[36:37], v[65:66], v[36:37]
	;; [unrolled: 1-line block ×4, first 2 shown]
	v_mul_f64 v[79:80], v[71:72], s[38:39]
	v_fma_f64 v[83:84], v[59:60], s[2:3], -v[61:62]
	v_fma_f64 v[85:86], v[32:33], s[2:3], v[63:64]
	v_add_f64 v[24:25], v[24:25], v[34:35]
	v_fma_f64 v[34:35], v[59:60], s[2:3], v[61:62]
	v_add_f64 v[26:27], v[26:27], v[28:29]
	v_fma_f64 v[28:29], v[32:33], s[2:3], -v[63:64]
	v_fma_f64 v[63:64], v[32:33], s[20:21], v[81:82]
	v_fma_f64 v[61:62], v[59:60], s[20:21], -v[79:80]
	v_add_f64 v[30:31], v[83:84], v[30:31]
	v_mul_f64 v[83:84], v[71:72], s[34:35]
	v_add_f64 v[47:48], v[85:86], v[47:48]
	v_add_f64 v[34:35], v[34:35], v[38:39]
	v_mul_f64 v[38:39], v[91:92], s[34:35]
	v_add_f64 v[28:29], v[28:29], v[53:54]
	v_add_f64 v[53:54], v[63:64], v[57:58]
	v_fma_f64 v[57:58], v[59:60], s[20:21], v[79:80]
	v_mul_f64 v[79:80], v[71:72], s[10:11]
	v_add_f64 v[49:50], v[61:62], v[49:50]
	v_fma_f64 v[61:62], v[32:33], s[20:21], -v[81:82]
	v_fma_f64 v[63:64], v[59:60], s[0:1], -v[83:84]
	v_fma_f64 v[81:82], v[32:33], s[0:1], v[38:39]
	v_mul_f64 v[85:86], v[91:92], s[10:11]
	v_fma_f64 v[38:39], v[32:33], s[0:1], -v[38:39]
	v_add_f64 v[40:41], v[57:58], v[40:41]
	v_fma_f64 v[57:58], v[59:60], s[6:7], -v[79:80]
	v_fma_f64 v[83:84], v[59:60], s[0:1], v[83:84]
	v_add_f64 v[51:52], v[61:62], v[51:52]
	v_add_f64 v[55:56], v[63:64], v[55:56]
	;; [unrolled: 1-line block ×3, first 2 shown]
	v_fma_f64 v[63:64], v[32:33], s[6:7], v[85:86]
	v_add_f64 v[38:39], v[38:39], v[75:76]
	v_mul_f64 v[69:70], v[71:72], s[8:9]
	v_fma_f64 v[71:72], v[59:60], s[6:7], v[79:80]
	v_mul_f64 v[75:76], v[91:92], s[8:9]
	v_add_f64 v[57:58], v[57:58], v[67:68]
	v_add_f64 v[67:68], v[13:14], -v[17:18]
	v_fma_f64 v[79:80], v[32:33], s[6:7], -v[85:86]
	v_add_f64 v[63:64], v[63:64], v[77:78]
	v_add_f64 v[77:78], v[15:16], -v[19:20]
	v_add_f64 v[15:16], v[15:16], v[19:20]
	v_add_f64 v[44:45], v[71:72], v[44:45]
	v_fma_f64 v[71:72], v[32:33], s[14:15], v[75:76]
	v_fma_f64 v[81:82], v[59:60], s[14:15], -v[69:70]
	v_mul_f64 v[19:20], v[67:68], s[8:9]
	v_add_f64 v[13:14], v[13:14], v[17:18]
	v_add_f64 v[36:37], v[79:80], v[36:37]
	v_mul_f64 v[17:18], v[77:78], s[8:9]
	v_fma_f64 v[59:60], v[59:60], s[14:15], v[69:70]
	v_fma_f64 v[32:33], v[32:33], s[14:15], -v[75:76]
	v_add_f64 v[69:70], v[71:72], v[73:74]
	v_mul_f64 v[71:72], v[67:68], s[36:37]
	v_fma_f64 v[73:74], v[15:16], s[14:15], -v[19:20]
	v_fma_f64 v[19:20], v[15:16], s[14:15], v[19:20]
	v_mul_f64 v[79:80], v[77:78], s[36:37]
	v_fma_f64 v[75:76], v[13:14], s[14:15], v[17:18]
	v_add_f64 v[24:25], v[59:60], v[24:25]
	v_add_f64 v[26:27], v[32:33], v[26:27]
	v_fma_f64 v[17:18], v[13:14], s[14:15], -v[17:18]
	v_fma_f64 v[32:33], v[15:16], s[2:3], -v[71:72]
	v_add_f64 v[30:31], v[73:74], v[30:31]
	v_add_f64 v[19:20], v[19:20], v[34:35]
	v_fma_f64 v[34:35], v[13:14], s[2:3], v[79:80]
	v_mul_f64 v[59:60], v[67:68], s[10:11]
	v_mul_f64 v[73:74], v[77:78], s[10:11]
	v_add_f64 v[42:43], v[83:84], v[42:43]
	v_add_f64 v[47:48], v[75:76], v[47:48]
	;; [unrolled: 1-line block ×4, first 2 shown]
	v_fma_f64 v[32:33], v[15:16], s[2:3], v[71:72]
	v_fma_f64 v[49:50], v[13:14], s[2:3], -v[79:80]
	v_mul_f64 v[71:72], v[67:68], s[22:23]
	v_add_f64 v[34:35], v[34:35], v[53:54]
	v_fma_f64 v[53:54], v[15:16], s[6:7], -v[59:60]
	v_fma_f64 v[75:76], v[13:14], s[6:7], v[73:74]
	v_fma_f64 v[59:60], v[15:16], s[6:7], v[59:60]
	v_fma_f64 v[73:74], v[13:14], s[6:7], -v[73:74]
	v_add_f64 v[32:33], v[32:33], v[40:41]
	v_add_f64 v[40:41], v[49:50], v[51:52]
	v_fma_f64 v[49:50], v[15:16], s[20:21], -v[71:72]
	v_mul_f64 v[51:52], v[77:78], s[22:23]
	v_add_f64 v[53:54], v[53:54], v[55:56]
	v_add_f64 v[55:56], v[75:76], v[61:62]
	;; [unrolled: 1-line block ×4, first 2 shown]
	v_mul_f64 v[59:60], v[67:68], s[34:35]
	v_mul_f64 v[61:62], v[77:78], s[34:35]
	v_add_f64 v[67:68], v[7:8], -v[11:12]
	v_add_f64 v[73:74], v[5:6], -v[9:10]
	v_add_f64 v[65:66], v[81:82], v[65:66]
	v_add_f64 v[49:50], v[49:50], v[57:58]
	v_fma_f64 v[57:58], v[13:14], s[20:21], v[51:52]
	v_fma_f64 v[51:52], v[13:14], s[20:21], -v[51:52]
	v_fma_f64 v[75:76], v[15:16], s[0:1], -v[59:60]
	v_fma_f64 v[77:78], v[13:14], s[0:1], v[61:62]
	v_add_f64 v[79:80], v[5:6], v[9:10]
	v_add_f64 v[81:82], v[7:8], v[11:12]
	v_mul_f64 v[5:6], v[67:68], s[22:23]
	v_mul_f64 v[7:8], v[73:74], s[22:23]
	v_fma_f64 v[71:72], v[15:16], s[20:21], v[71:72]
	v_add_f64 v[57:58], v[57:58], v[63:64]
	v_add_f64 v[51:52], v[51:52], v[36:37]
	v_fma_f64 v[9:10], v[15:16], s[0:1], v[59:60]
	v_add_f64 v[59:60], v[75:76], v[65:66]
	v_add_f64 v[63:64], v[77:78], v[69:70]
	v_fma_f64 v[11:12], v[79:80], s[20:21], -v[5:6]
	v_fma_f64 v[15:16], v[81:82], s[20:21], v[7:8]
	v_fma_f64 v[36:37], v[79:80], s[20:21], v[5:6]
	v_mul_f64 v[65:66], v[67:68], s[28:29]
	v_mul_f64 v[69:70], v[73:74], s[28:29]
	v_add_f64 v[44:45], v[71:72], v[44:45]
	v_add_f64 v[71:72], v[9:10], v[24:25]
	v_fma_f64 v[13:14], v[13:14], s[0:1], -v[61:62]
	v_fma_f64 v[24:25], v[81:82], s[20:21], -v[7:8]
	v_add_f64 v[5:6], v[11:12], v[30:31]
	v_add_f64 v[7:8], v[15:16], v[47:48]
	;; [unrolled: 1-line block ×3, first 2 shown]
	v_fma_f64 v[15:16], v[79:80], s[6:7], -v[65:66]
	v_fma_f64 v[19:20], v[81:82], s[6:7], v[69:70]
	v_mul_f64 v[30:31], v[67:68], s[8:9]
	v_mul_f64 v[36:37], v[73:74], s[8:9]
	v_fma_f64 v[47:48], v[79:80], s[6:7], v[65:66]
	v_fma_f64 v[61:62], v[81:82], s[6:7], -v[69:70]
	v_add_f64 v[11:12], v[24:25], v[17:18]
	v_add_f64 v[65:66], v[13:14], v[26:27]
	;; [unrolled: 1-line block ×4, first 2 shown]
	v_fma_f64 v[24:25], v[79:80], s[14:15], -v[30:31]
	v_fma_f64 v[28:29], v[79:80], s[14:15], v[30:31]
	v_add_f64 v[17:18], v[47:48], v[32:33]
	v_fma_f64 v[30:31], v[81:82], s[14:15], -v[36:37]
	v_mul_f64 v[32:33], v[67:68], s[34:35]
	v_mul_f64 v[34:35], v[73:74], s[34:35]
	v_fma_f64 v[26:27], v[81:82], s[14:15], v[36:37]
	v_add_f64 v[19:20], v[61:62], v[40:41]
	v_mul_f64 v[36:37], v[67:68], s[4:5]
	v_mul_f64 v[40:41], v[73:74], s[4:5]
	v_add_f64 v[28:29], v[28:29], v[42:43]
	v_add_f64 v[30:31], v[30:31], v[38:39]
	v_fma_f64 v[38:39], v[79:80], s[0:1], -v[32:33]
	v_fma_f64 v[42:43], v[81:82], s[0:1], v[34:35]
	v_add_f64 v[26:27], v[26:27], v[55:56]
	v_fma_f64 v[47:48], v[79:80], s[0:1], v[32:33]
	v_fma_f64 v[55:56], v[79:80], s[2:3], -v[36:37]
	v_fma_f64 v[61:62], v[81:82], s[2:3], v[40:41]
	v_fma_f64 v[67:68], v[79:80], s[2:3], v[36:37]
	v_fma_f64 v[69:70], v[81:82], s[2:3], -v[40:41]
	v_add_f64 v[24:25], v[24:25], v[53:54]
	v_fma_f64 v[53:54], v[81:82], s[0:1], -v[34:35]
	v_add_f64 v[32:33], v[38:39], v[49:50]
	v_add_f64 v[34:35], v[42:43], v[57:58]
	;; [unrolled: 1-line block ×8, first 2 shown]
	v_mul_u32_u24_e32 v45, 0x21e, v0
	ds_write_b128 v22, v[1:4]
	ds_write_b128 v22, v[5:8] offset:176
	ds_write_b128 v22, v[13:16] offset:352
	;; [unrolled: 1-line block ×10, first 2 shown]
	v_mul_lo_u16_sdwa v1, v45, s33 dst_sel:DWORD dst_unused:UNUSED_PAD src0_sel:WORD_1 src1_sel:DWORD
	v_sub_u16_e32 v1, v0, v1
	v_mul_lo_u16_e32 v1, 10, v1
	v_lshlrev_b32_e32 v42, 4, v1
	s_waitcnt lgkmcnt(0)
	s_barrier
	global_load_dwordx4 v[1:4], v42, s[16:17] offset:1760
	global_load_dwordx4 v[5:8], v42, s[16:17] offset:1776
	;; [unrolled: 1-line block ×10, first 2 shown]
	ds_read_b128 v[47:50], v21 offset:1936
	ds_read_b128 v[51:54], v21 offset:3872
	ds_read_b128 v[55:58], v21
	ds_read_b128 v[59:62], v21 offset:5808
	s_waitcnt vmcnt(9) lgkmcnt(3)
	v_mul_f64 v[42:43], v[49:50], v[3:4]
	v_mul_f64 v[3:4], v[47:48], v[3:4]
	s_waitcnt vmcnt(8) lgkmcnt(2)
	v_mul_f64 v[63:64], v[53:54], v[7:8]
	v_mul_f64 v[7:8], v[51:52], v[7:8]
	v_fma_f64 v[42:43], v[47:48], v[1:2], -v[42:43]
	v_fma_f64 v[47:48], v[49:50], v[1:2], v[3:4]
	ds_read_b128 v[1:4], v21 offset:7744
	v_fma_f64 v[49:50], v[51:52], v[5:6], -v[63:64]
	s_waitcnt vmcnt(7) lgkmcnt(1)
	v_mul_f64 v[51:52], v[61:62], v[11:12]
	v_mul_f64 v[11:12], v[59:60], v[11:12]
	v_fma_f64 v[53:54], v[53:54], v[5:6], v[7:8]
	s_waitcnt vmcnt(6) lgkmcnt(0)
	v_mul_f64 v[67:68], v[3:4], v[15:16]
	v_add_f64 v[63:64], v[55:56], v[42:43]
	v_add_f64 v[65:66], v[57:58], v[47:48]
	v_mul_f64 v[15:16], v[1:2], v[15:16]
	ds_read_b128 v[5:8], v21 offset:9680
	v_fma_f64 v[51:52], v[59:60], v[9:10], -v[51:52]
	v_fma_f64 v[59:60], v[61:62], v[9:10], v[11:12]
	ds_read_b128 v[9:12], v21 offset:11616
	v_add_f64 v[61:62], v[63:64], v[49:50]
	v_add_f64 v[63:64], v[65:66], v[53:54]
	v_fma_f64 v[65:66], v[1:2], v[13:14], -v[67:68]
	s_waitcnt vmcnt(5) lgkmcnt(1)
	v_mul_f64 v[67:68], v[7:8], v[19:20]
	v_mul_f64 v[19:20], v[5:6], v[19:20]
	v_fma_f64 v[13:14], v[3:4], v[13:14], v[15:16]
	ds_read_b128 v[1:4], v21 offset:13552
	v_add_f64 v[15:16], v[61:62], v[51:52]
	v_add_f64 v[61:62], v[63:64], v[59:60]
	s_waitcnt vmcnt(4) lgkmcnt(1)
	v_mul_f64 v[63:64], v[11:12], v[24:25]
	v_fma_f64 v[67:68], v[5:6], v[17:18], -v[67:68]
	v_fma_f64 v[17:18], v[7:8], v[17:18], v[19:20]
	ds_read_b128 v[5:8], v21 offset:15488
	v_mul_f64 v[19:20], v[9:10], v[24:25]
	v_add_f64 v[15:16], v[15:16], v[65:66]
	v_add_f64 v[24:25], v[61:62], v[13:14]
	v_fma_f64 v[61:62], v[9:10], v[22:23], -v[63:64]
	s_waitcnt vmcnt(3) lgkmcnt(1)
	v_mul_f64 v[63:64], v[3:4], v[28:29]
	v_mul_f64 v[28:29], v[1:2], v[28:29]
	v_fma_f64 v[19:20], v[11:12], v[22:23], v[19:20]
	ds_read_b128 v[9:12], v21 offset:17424
	v_add_f64 v[15:16], v[15:16], v[67:68]
	v_add_f64 v[22:23], v[24:25], v[17:18]
	s_waitcnt vmcnt(2) lgkmcnt(1)
	v_mul_f64 v[24:25], v[7:8], v[32:33]
	v_mul_f64 v[32:33], v[5:6], v[32:33]
	v_fma_f64 v[63:64], v[1:2], v[26:27], -v[63:64]
	v_fma_f64 v[26:27], v[3:4], v[26:27], v[28:29]
	ds_read_b128 v[1:4], v21 offset:19360
	s_waitcnt vmcnt(0) lgkmcnt(1)
	v_mul_f64 v[28:29], v[11:12], v[40:41]
	v_add_f64 v[15:16], v[15:16], v[61:62]
	v_add_f64 v[21:22], v[22:23], v[19:20]
	v_fma_f64 v[5:6], v[5:6], v[30:31], -v[24:25]
	v_fma_f64 v[7:8], v[7:8], v[30:31], v[32:33]
	s_waitcnt lgkmcnt(0)
	v_mul_f64 v[23:24], v[1:2], v[36:37]
	v_mul_f64 v[30:31], v[9:10], v[40:41]
	;; [unrolled: 1-line block ×3, first 2 shown]
	v_fma_f64 v[9:10], v[9:10], v[38:39], -v[28:29]
	v_add_f64 v[15:16], v[15:16], v[63:64]
	v_add_f64 v[21:22], v[21:22], v[26:27]
	v_fma_f64 v[23:24], v[3:4], v[34:35], v[23:24]
	v_fma_f64 v[11:12], v[11:12], v[38:39], v[30:31]
	v_fma_f64 v[1:2], v[1:2], v[34:35], -v[32:33]
	v_add_f64 v[87:88], v[49:50], -v[9:10]
	v_add_f64 v[3:4], v[15:16], v[5:6]
	v_add_f64 v[15:16], v[21:22], v[7:8]
	v_add_f64 v[21:22], v[47:48], -v[23:24]
	v_add_f64 v[32:33], v[42:43], -v[1:2]
	v_add_f64 v[28:29], v[42:43], v[1:2]
	v_add_f64 v[3:4], v[3:4], v[9:10]
	;; [unrolled: 1-line block ×4, first 2 shown]
	v_mul_f64 v[95:96], v[87:88], s[38:39]
	v_mul_f64 v[30:31], v[21:22], s[10:11]
	;; [unrolled: 1-line block ×5, first 2 shown]
	v_add_f64 v[1:2], v[3:4], v[1:2]
	v_add_f64 v[3:4], v[15:16], v[23:24]
	v_mul_f64 v[15:16], v[21:22], s[12:13]
	v_add_f64 v[23:24], v[47:48], v[23:24]
	v_mul_f64 v[21:22], v[21:22], s[22:23]
	v_mul_f64 v[71:72], v[32:33], s[12:13]
	v_fma_f64 v[36:37], v[28:29], s[6:7], -v[30:31]
	v_fma_f64 v[30:31], v[28:29], s[6:7], v[30:31]
	v_fma_f64 v[47:48], v[28:29], s[2:3], -v[34:35]
	v_fma_f64 v[34:35], v[28:29], s[2:3], v[34:35]
	;; [unrolled: 2-line block ×4, first 2 shown]
	v_fma_f64 v[73:74], v[28:29], s[20:21], -v[21:22]
	v_mul_f64 v[75:76], v[32:33], s[4:5]
	v_fma_f64 v[21:22], v[28:29], s[20:21], v[21:22]
	v_mul_f64 v[28:29], v[32:33], s[8:9]
	v_mul_f64 v[32:33], v[32:33], s[22:23]
	v_fma_f64 v[77:78], v[23:24], s[6:7], v[40:41]
	v_fma_f64 v[79:80], v[23:24], s[0:1], v[71:72]
	v_fma_f64 v[40:41], v[23:24], s[6:7], -v[40:41]
	v_fma_f64 v[71:72], v[23:24], s[0:1], -v[71:72]
	v_fma_f64 v[81:82], v[23:24], s[2:3], v[75:76]
	v_fma_f64 v[75:76], v[23:24], s[2:3], -v[75:76]
	v_fma_f64 v[83:84], v[23:24], s[14:15], v[28:29]
	;; [unrolled: 2-line block ×3, first 2 shown]
	v_fma_f64 v[23:24], v[23:24], s[20:21], -v[32:33]
	v_add_f64 v[32:33], v[55:56], v[36:37]
	v_add_f64 v[36:37], v[57:58], v[77:78]
	;; [unrolled: 1-line block ×3, first 2 shown]
	v_add_f64 v[79:80], v[53:54], -v[11:12]
	v_add_f64 v[11:12], v[53:54], v[11:12]
	v_mul_f64 v[53:54], v[87:88], s[12:13]
	v_add_f64 v[30:31], v[55:56], v[30:31]
	v_add_f64 v[40:41], v[57:58], v[40:41]
	;; [unrolled: 1-line block ×5, first 2 shown]
	v_mul_f64 v[49:50], v[79:80], s[12:13]
	v_add_f64 v[34:35], v[55:56], v[34:35]
	v_add_f64 v[69:70], v[55:56], v[69:70]
	;; [unrolled: 1-line block ×4, first 2 shown]
	v_mul_f64 v[91:92], v[79:80], s[8:9]
	v_fma_f64 v[93:94], v[11:12], s[0:1], v[53:54]
	v_add_f64 v[21:22], v[55:56], v[21:22]
	v_fma_f64 v[89:90], v[9:10], s[0:1], -v[49:50]
	v_mul_f64 v[55:56], v[87:88], s[8:9]
	v_fma_f64 v[49:50], v[9:10], s[0:1], v[49:50]
	v_fma_f64 v[53:54], v[11:12], s[0:1], -v[53:54]
	v_add_f64 v[71:72], v[57:58], v[71:72]
	v_add_f64 v[81:82], v[57:58], v[81:82]
	;; [unrolled: 1-line block ×5, first 2 shown]
	v_mul_f64 v[89:90], v[79:80], s[38:39]
	v_add_f64 v[28:29], v[57:58], v[28:29]
	v_add_f64 v[85:86], v[57:58], v[85:86]
	;; [unrolled: 1-line block ×3, first 2 shown]
	v_fma_f64 v[57:58], v[9:10], s[14:15], -v[91:92]
	v_add_f64 v[36:37], v[93:94], v[36:37]
	v_fma_f64 v[93:94], v[11:12], s[14:15], v[55:56]
	v_fma_f64 v[91:92], v[9:10], s[14:15], v[91:92]
	v_add_f64 v[30:31], v[49:50], v[30:31]
	v_add_f64 v[40:41], v[53:54], v[40:41]
	v_fma_f64 v[49:50], v[11:12], s[14:15], -v[55:56]
	v_fma_f64 v[53:54], v[9:10], s[20:21], -v[89:90]
	v_add_f64 v[42:43], v[57:58], v[42:43]
	v_fma_f64 v[57:58], v[11:12], s[20:21], v[95:96]
	v_add_f64 v[55:56], v[93:94], v[77:78]
	v_add_f64 v[15:16], v[91:92], v[15:16]
	v_fma_f64 v[77:78], v[9:10], s[20:21], v[89:90]
	v_fma_f64 v[89:90], v[11:12], s[20:21], -v[95:96]
	v_mul_f64 v[91:92], v[79:80], s[36:37]
	v_add_f64 v[49:50], v[49:50], v[71:72]
	v_add_f64 v[47:48], v[53:54], v[47:48]
	v_mul_f64 v[53:54], v[79:80], s[28:29]
	v_mul_f64 v[71:72], v[87:88], s[36:37]
	v_add_f64 v[57:58], v[57:58], v[81:82]
	v_add_f64 v[34:35], v[77:78], v[34:35]
	;; [unrolled: 1-line block ×3, first 2 shown]
	v_fma_f64 v[77:78], v[9:10], s[2:3], -v[91:92]
	v_mul_f64 v[79:80], v[87:88], s[28:29]
	v_fma_f64 v[81:82], v[9:10], s[2:3], v[91:92]
	v_fma_f64 v[87:88], v[9:10], s[6:7], -v[53:54]
	v_fma_f64 v[89:90], v[11:12], s[2:3], v[71:72]
	v_fma_f64 v[9:10], v[9:10], s[6:7], v[53:54]
	v_fma_f64 v[53:54], v[11:12], s[2:3], -v[71:72]
	v_add_f64 v[71:72], v[59:60], -v[7:8]
	v_add_f64 v[91:92], v[51:52], -v[5:6]
	v_add_f64 v[5:6], v[51:52], v[5:6]
	v_fma_f64 v[93:94], v[11:12], s[6:7], v[79:80]
	v_fma_f64 v[11:12], v[11:12], s[6:7], -v[79:80]
	v_add_f64 v[69:70], v[77:78], v[69:70]
	v_add_f64 v[77:78], v[89:90], v[83:84]
	;; [unrolled: 1-line block ×3, first 2 shown]
	v_mul_f64 v[51:52], v[71:72], s[4:5]
	v_mul_f64 v[59:60], v[91:92], s[4:5]
	v_add_f64 v[38:39], v[81:82], v[38:39]
	v_mul_f64 v[79:80], v[71:72], s[38:39]
	v_mul_f64 v[81:82], v[91:92], s[38:39]
	v_add_f64 v[28:29], v[53:54], v[28:29]
	v_add_f64 v[53:54], v[87:88], v[73:74]
	;; [unrolled: 1-line block ×3, first 2 shown]
	v_fma_f64 v[83:84], v[5:6], s[2:3], -v[51:52]
	v_fma_f64 v[85:86], v[7:8], s[2:3], v[59:60]
	v_add_f64 v[9:10], v[9:10], v[21:22]
	v_add_f64 v[11:12], v[11:12], v[23:24]
	v_fma_f64 v[21:22], v[5:6], s[2:3], v[51:52]
	v_fma_f64 v[23:24], v[7:8], s[2:3], -v[59:60]
	v_fma_f64 v[51:52], v[5:6], s[20:21], -v[79:80]
	v_fma_f64 v[59:60], v[7:8], s[20:21], v[81:82]
	v_add_f64 v[32:33], v[83:84], v[32:33]
	v_mul_f64 v[83:84], v[71:72], s[34:35]
	v_add_f64 v[36:37], v[85:86], v[36:37]
	v_mul_f64 v[85:86], v[91:92], s[34:35]
	v_add_f64 v[21:22], v[21:22], v[30:31]
	v_add_f64 v[23:24], v[23:24], v[40:41]
	;; [unrolled: 1-line block ×4, first 2 shown]
	v_fma_f64 v[42:43], v[5:6], s[20:21], v[79:80]
	v_fma_f64 v[51:52], v[7:8], s[20:21], -v[81:82]
	v_fma_f64 v[55:56], v[5:6], s[0:1], -v[83:84]
	v_mul_f64 v[79:80], v[71:72], s[10:11]
	v_mul_f64 v[81:82], v[91:92], s[10:11]
	v_fma_f64 v[59:60], v[7:8], s[0:1], v[85:86]
	v_fma_f64 v[83:84], v[5:6], s[0:1], v[83:84]
	v_fma_f64 v[85:86], v[7:8], s[0:1], -v[85:86]
	v_add_f64 v[15:16], v[42:43], v[15:16]
	v_add_f64 v[42:43], v[51:52], v[49:50]
	;; [unrolled: 1-line block ×3, first 2 shown]
	v_fma_f64 v[51:52], v[5:6], s[6:7], -v[79:80]
	v_fma_f64 v[55:56], v[7:8], s[6:7], v[81:82]
	v_add_f64 v[49:50], v[59:60], v[57:58]
	v_mul_f64 v[59:60], v[71:72], s[8:9]
	v_mul_f64 v[71:72], v[91:92], s[8:9]
	v_add_f64 v[34:35], v[83:84], v[34:35]
	v_add_f64 v[57:58], v[85:86], v[75:76]
	v_fma_f64 v[75:76], v[5:6], s[6:7], v[79:80]
	v_add_f64 v[51:52], v[51:52], v[69:70]
	v_add_f64 v[55:56], v[55:56], v[77:78]
	v_add_f64 v[69:70], v[13:14], -v[26:27]
	v_add_f64 v[77:78], v[65:66], -v[63:64]
	v_fma_f64 v[79:80], v[7:8], s[6:7], -v[81:82]
	v_fma_f64 v[81:82], v[5:6], s[14:15], -v[59:60]
	v_fma_f64 v[83:84], v[7:8], s[14:15], v[71:72]
	v_add_f64 v[63:64], v[65:66], v[63:64]
	v_add_f64 v[13:14], v[13:14], v[26:27]
	v_fma_f64 v[5:6], v[5:6], s[14:15], v[59:60]
	v_mul_f64 v[25:26], v[69:70], s[8:9]
	v_mul_f64 v[65:66], v[77:78], s[8:9]
	v_fma_f64 v[7:8], v[7:8], s[14:15], -v[71:72]
	v_mul_f64 v[59:60], v[69:70], s[36:37]
	v_mul_f64 v[71:72], v[77:78], s[36:37]
	v_add_f64 v[38:39], v[75:76], v[38:39]
	v_add_f64 v[28:29], v[79:80], v[28:29]
	v_add_f64 v[5:6], v[5:6], v[9:10]
	v_fma_f64 v[75:76], v[63:64], s[14:15], -v[25:26]
	v_fma_f64 v[79:80], v[13:14], s[14:15], v[65:66]
	v_fma_f64 v[25:26], v[63:64], s[14:15], v[25:26]
	v_fma_f64 v[65:66], v[13:14], s[14:15], -v[65:66]
	v_add_f64 v[7:8], v[7:8], v[11:12]
	v_fma_f64 v[9:10], v[63:64], s[2:3], -v[59:60]
	v_fma_f64 v[11:12], v[13:14], s[2:3], v[71:72]
	v_add_f64 v[53:54], v[81:82], v[53:54]
	v_add_f64 v[32:33], v[75:76], v[32:33]
	;; [unrolled: 1-line block ×5, first 2 shown]
	v_mul_f64 v[25:26], v[69:70], s[10:11]
	v_mul_f64 v[65:66], v[77:78], s[10:11]
	v_add_f64 v[9:10], v[9:10], v[30:31]
	v_add_f64 v[11:12], v[11:12], v[40:41]
	v_fma_f64 v[30:31], v[63:64], s[2:3], v[59:60]
	v_fma_f64 v[40:41], v[13:14], s[2:3], -v[71:72]
	v_mul_f64 v[59:60], v[69:70], s[22:23]
	v_mul_f64 v[71:72], v[77:78], s[22:23]
	v_fma_f64 v[75:76], v[63:64], s[6:7], -v[25:26]
	v_fma_f64 v[79:80], v[13:14], s[6:7], v[65:66]
	v_fma_f64 v[25:26], v[63:64], s[6:7], v[25:26]
	v_fma_f64 v[65:66], v[13:14], s[6:7], -v[65:66]
	v_add_f64 v[15:16], v[30:31], v[15:16]
	v_add_f64 v[30:31], v[40:41], v[42:43]
	v_fma_f64 v[40:41], v[63:64], s[20:21], -v[59:60]
	v_fma_f64 v[42:43], v[13:14], s[20:21], v[71:72]
	v_add_f64 v[73:74], v[83:84], v[73:74]
	v_add_f64 v[47:48], v[75:76], v[47:48]
	;; [unrolled: 1-line block ×4, first 2 shown]
	v_fma_f64 v[34:35], v[63:64], s[20:21], v[59:60]
	v_fma_f64 v[59:60], v[13:14], s[20:21], -v[71:72]
	v_add_f64 v[51:52], v[40:41], v[51:52]
	v_add_f64 v[65:66], v[17:18], -v[19:20]
	v_mul_f64 v[40:41], v[69:70], s[34:35]
	v_add_f64 v[71:72], v[67:68], -v[61:62]
	v_add_f64 v[55:56], v[42:43], v[55:56]
	v_mul_f64 v[42:43], v[77:78], s[34:35]
	v_add_f64 v[69:70], v[34:35], v[38:39]
	v_add_f64 v[27:28], v[59:60], v[28:29]
	;; [unrolled: 1-line block ×4, first 2 shown]
	v_mul_f64 v[19:20], v[65:66], s[22:23]
	v_fma_f64 v[38:39], v[63:64], s[0:1], -v[40:41]
	v_mul_f64 v[34:35], v[71:72], s[22:23]
	v_fma_f64 v[61:62], v[13:14], s[0:1], v[42:43]
	v_fma_f64 v[40:41], v[63:64], s[0:1], v[40:41]
	v_fma_f64 v[13:14], v[13:14], s[0:1], -v[42:43]
	v_mul_f64 v[67:68], v[71:72], s[28:29]
	v_add_f64 v[49:50], v[79:80], v[49:50]
	v_fma_f64 v[42:43], v[59:60], s[20:21], -v[19:20]
	v_add_f64 v[53:54], v[38:39], v[53:54]
	v_mul_f64 v[38:39], v[65:66], s[28:29]
	v_fma_f64 v[63:64], v[17:18], s[20:21], v[34:35]
	v_add_f64 v[61:62], v[61:62], v[73:74]
	v_add_f64 v[73:74], v[40:41], v[5:6]
	;; [unrolled: 1-line block ×3, first 2 shown]
	v_fma_f64 v[5:6], v[59:60], s[20:21], v[19:20]
	v_fma_f64 v[7:8], v[17:18], s[20:21], -v[34:35]
	v_fma_f64 v[19:20], v[17:18], s[6:7], v[67:68]
	v_mul_f64 v[34:35], v[71:72], s[8:9]
	v_add_f64 v[41:42], v[42:43], v[32:33]
	v_fma_f64 v[13:14], v[59:60], s[6:7], -v[38:39]
	v_mul_f64 v[32:33], v[65:66], s[8:9]
	v_fma_f64 v[67:68], v[17:18], s[6:7], -v[67:68]
	v_add_f64 v[43:44], v[63:64], v[36:37]
	v_fma_f64 v[63:64], v[59:60], s[6:7], v[38:39]
	v_add_f64 v[39:40], v[19:20], v[11:12]
	v_fma_f64 v[19:20], v[17:18], s[14:15], v[34:35]
	v_add_f64 v[5:6], v[5:6], v[21:22]
	v_add_f64 v[37:38], v[13:14], v[9:10]
	v_fma_f64 v[13:14], v[59:60], s[14:15], -v[32:33]
	v_add_f64 v[11:12], v[67:68], v[30:31]
	v_mul_f64 v[29:30], v[71:72], s[34:35]
	v_add_f64 v[7:8], v[7:8], v[23:24]
	v_add_f64 v[9:10], v[63:64], v[15:16]
	v_fma_f64 v[15:16], v[59:60], s[14:15], v[32:33]
	v_fma_f64 v[21:22], v[17:18], s[14:15], -v[34:35]
	v_mul_f64 v[23:24], v[65:66], s[34:35]
	v_add_f64 v[35:36], v[19:20], v[49:50]
	v_mul_f64 v[19:20], v[65:66], s[4:5]
	v_mul_f64 v[31:32], v[71:72], s[4:5]
	v_add_f64 v[33:34], v[13:14], v[47:48]
	v_fma_f64 v[47:48], v[17:18], s[0:1], -v[29:30]
	s_movk_i32 s10, 0x4ba
	v_mul_lo_u16_sdwa v45, v45, s10 dst_sel:DWORD dst_unused:UNUSED_PAD src0_sel:WORD_1 src1_sel:DWORD
	v_add_u32_e32 v0, v0, v45
	v_mul_lo_u32 v45, v0, s26
	v_add_f64 v[13:14], v[15:16], v[25:26]
	v_add_f64 v[15:16], v[21:22], v[57:58]
	v_fma_f64 v[21:22], v[59:60], s[0:1], -v[23:24]
	v_fma_f64 v[25:26], v[17:18], s[0:1], v[29:30]
	v_fma_f64 v[23:24], v[59:60], s[0:1], v[23:24]
	s_lshl_b64 s[0:1], s[18:19], 4
	v_fma_f64 v[49:50], v[59:60], s[2:3], -v[19:20]
	v_fma_f64 v[57:58], v[17:18], s[2:3], v[31:32]
	v_fma_f64 v[59:60], v[59:60], s[2:3], v[19:20]
	v_fma_f64 v[63:64], v[17:18], s[2:3], -v[31:32]
	s_add_u32 s2, s30, s0
	s_addc_u32 s3, s31, s1
	s_lshl_b64 s[0:1], s[24:25], 4
	v_add_f64 v[19:20], v[47:48], v[27:28]
	s_add_u32 s0, s2, s0
	v_lshlrev_b64 v[47:48], 4, v[45:46]
	s_addc_u32 s1, s3, s1
	v_mov_b32_e32 v0, s1
	v_add_co_u32_e32 v47, vcc, s0, v47
	s_mul_i32 s2, s26, 0x79
	v_addc_co_u32_e32 v48, vcc, v0, v48, vcc
	v_add_u32_e32 v45, s2, v45
	global_store_dwordx4 v[47:48], v[1:4], off
	v_add_f64 v[29:30], v[21:22], v[51:52]
	v_lshlrev_b64 v[0:1], 4, v[45:46]
	v_mov_b32_e32 v2, s1
	v_add_co_u32_e32 v0, vcc, s0, v0
	v_addc_co_u32_e32 v1, vcc, v2, v1, vcc
	v_add_u32_e32 v45, s2, v45
	global_store_dwordx4 v[0:1], v[41:44], off
	v_lshlrev_b64 v[0:1], 4, v[45:46]
	v_add_u32_e32 v45, s2, v45
	v_add_co_u32_e32 v0, vcc, s0, v0
	v_addc_co_u32_e32 v1, vcc, v2, v1, vcc
	v_add_f64 v[31:32], v[25:26], v[55:56]
	global_store_dwordx4 v[0:1], v[37:40], off
	v_lshlrev_b64 v[0:1], 4, v[45:46]
	v_add_u32_e32 v45, s2, v45
	v_add_co_u32_e32 v0, vcc, s0, v0
	v_addc_co_u32_e32 v1, vcc, v2, v1, vcc
	v_add_f64 v[25:26], v[49:50], v[53:54]
	v_add_f64 v[27:28], v[57:58], v[61:62]
	global_store_dwordx4 v[0:1], v[33:36], off
	v_lshlrev_b64 v[0:1], 4, v[45:46]
	v_add_u32_e32 v45, s2, v45
	v_add_co_u32_e32 v0, vcc, s0, v0
	v_addc_co_u32_e32 v1, vcc, v2, v1, vcc
	v_add_f64 v[17:18], v[23:24], v[69:70]
	v_add_f64 v[21:22], v[59:60], v[73:74]
	v_add_f64 v[23:24], v[63:64], v[75:76]
	global_store_dwordx4 v[0:1], v[29:32], off
	v_lshlrev_b64 v[0:1], 4, v[45:46]
	v_add_u32_e32 v45, s2, v45
	v_add_co_u32_e32 v0, vcc, s0, v0
	v_addc_co_u32_e32 v1, vcc, v2, v1, vcc
	global_store_dwordx4 v[0:1], v[25:28], off
	v_lshlrev_b64 v[0:1], 4, v[45:46]
	v_add_u32_e32 v45, s2, v45
	v_add_co_u32_e32 v0, vcc, s0, v0
	v_addc_co_u32_e32 v1, vcc, v2, v1, vcc
	;; [unrolled: 5-line block ×5, first 2 shown]
	global_store_dwordx4 v[0:1], v[9:12], off
	v_lshlrev_b64 v[0:1], 4, v[45:46]
	v_add_co_u32_e32 v0, vcc, s0, v0
	v_addc_co_u32_e32 v1, vcc, v2, v1, vcc
	global_store_dwordx4 v[0:1], v[5:8], off
	s_endpgm
	.section	.rodata,"a",@progbits
	.p2align	6, 0x0
	.amdhsa_kernel fft_rtc_fwd_len1331_factors_11_11_11_wgs_121_tpt_121_dp_op_CI_CI_sbrc_aligned_dirReg
		.amdhsa_group_segment_fixed_size 0
		.amdhsa_private_segment_fixed_size 0
		.amdhsa_kernarg_size 104
		.amdhsa_user_sgpr_count 6
		.amdhsa_user_sgpr_private_segment_buffer 1
		.amdhsa_user_sgpr_dispatch_ptr 0
		.amdhsa_user_sgpr_queue_ptr 0
		.amdhsa_user_sgpr_kernarg_segment_ptr 1
		.amdhsa_user_sgpr_dispatch_id 0
		.amdhsa_user_sgpr_flat_scratch_init 0
		.amdhsa_user_sgpr_private_segment_size 0
		.amdhsa_uses_dynamic_stack 0
		.amdhsa_system_sgpr_private_segment_wavefront_offset 0
		.amdhsa_system_sgpr_workgroup_id_x 1
		.amdhsa_system_sgpr_workgroup_id_y 0
		.amdhsa_system_sgpr_workgroup_id_z 0
		.amdhsa_system_sgpr_workgroup_info 0
		.amdhsa_system_vgpr_workitem_id 0
		.amdhsa_next_free_vgpr 97
		.amdhsa_next_free_sgpr 41
		.amdhsa_reserve_vcc 1
		.amdhsa_reserve_flat_scratch 0
		.amdhsa_float_round_mode_32 0
		.amdhsa_float_round_mode_16_64 0
		.amdhsa_float_denorm_mode_32 3
		.amdhsa_float_denorm_mode_16_64 3
		.amdhsa_dx10_clamp 1
		.amdhsa_ieee_mode 1
		.amdhsa_fp16_overflow 0
		.amdhsa_exception_fp_ieee_invalid_op 0
		.amdhsa_exception_fp_denorm_src 0
		.amdhsa_exception_fp_ieee_div_zero 0
		.amdhsa_exception_fp_ieee_overflow 0
		.amdhsa_exception_fp_ieee_underflow 0
		.amdhsa_exception_fp_ieee_inexact 0
		.amdhsa_exception_int_div_zero 0
	.end_amdhsa_kernel
	.text
.Lfunc_end0:
	.size	fft_rtc_fwd_len1331_factors_11_11_11_wgs_121_tpt_121_dp_op_CI_CI_sbrc_aligned_dirReg, .Lfunc_end0-fft_rtc_fwd_len1331_factors_11_11_11_wgs_121_tpt_121_dp_op_CI_CI_sbrc_aligned_dirReg
                                        ; -- End function
	.section	.AMDGPU.csdata,"",@progbits
; Kernel info:
; codeLenInByte = 11712
; NumSgprs: 45
; NumVgprs: 97
; ScratchSize: 0
; MemoryBound: 0
; FloatMode: 240
; IeeeMode: 1
; LDSByteSize: 0 bytes/workgroup (compile time only)
; SGPRBlocks: 5
; VGPRBlocks: 24
; NumSGPRsForWavesPerEU: 45
; NumVGPRsForWavesPerEU: 97
; Occupancy: 2
; WaveLimiterHint : 1
; COMPUTE_PGM_RSRC2:SCRATCH_EN: 0
; COMPUTE_PGM_RSRC2:USER_SGPR: 6
; COMPUTE_PGM_RSRC2:TRAP_HANDLER: 0
; COMPUTE_PGM_RSRC2:TGID_X_EN: 1
; COMPUTE_PGM_RSRC2:TGID_Y_EN: 0
; COMPUTE_PGM_RSRC2:TGID_Z_EN: 0
; COMPUTE_PGM_RSRC2:TIDIG_COMP_CNT: 0
	.type	__hip_cuid_20ae8ce70462b021,@object ; @__hip_cuid_20ae8ce70462b021
	.section	.bss,"aw",@nobits
	.globl	__hip_cuid_20ae8ce70462b021
__hip_cuid_20ae8ce70462b021:
	.byte	0                               ; 0x0
	.size	__hip_cuid_20ae8ce70462b021, 1

	.ident	"AMD clang version 19.0.0git (https://github.com/RadeonOpenCompute/llvm-project roc-6.4.0 25133 c7fe45cf4b819c5991fe208aaa96edf142730f1d)"
	.section	".note.GNU-stack","",@progbits
	.addrsig
	.addrsig_sym __hip_cuid_20ae8ce70462b021
	.amdgpu_metadata
---
amdhsa.kernels:
  - .args:
      - .actual_access:  read_only
        .address_space:  global
        .offset:         0
        .size:           8
        .value_kind:     global_buffer
      - .offset:         8
        .size:           8
        .value_kind:     by_value
      - .actual_access:  read_only
        .address_space:  global
        .offset:         16
        .size:           8
        .value_kind:     global_buffer
      - .actual_access:  read_only
        .address_space:  global
        .offset:         24
        .size:           8
        .value_kind:     global_buffer
      - .actual_access:  read_only
        .address_space:  global
        .offset:         32
        .size:           8
        .value_kind:     global_buffer
      - .offset:         40
        .size:           8
        .value_kind:     by_value
      - .actual_access:  read_only
        .address_space:  global
        .offset:         48
        .size:           8
        .value_kind:     global_buffer
      - .actual_access:  read_only
        .address_space:  global
        .offset:         56
        .size:           8
        .value_kind:     global_buffer
      - .offset:         64
        .size:           4
        .value_kind:     by_value
      - .actual_access:  read_only
        .address_space:  global
        .offset:         72
        .size:           8
        .value_kind:     global_buffer
      - .actual_access:  read_only
        .address_space:  global
        .offset:         80
        .size:           8
        .value_kind:     global_buffer
      - .actual_access:  read_only
        .address_space:  global
        .offset:         88
        .size:           8
        .value_kind:     global_buffer
      - .actual_access:  write_only
        .address_space:  global
        .offset:         96
        .size:           8
        .value_kind:     global_buffer
    .group_segment_fixed_size: 0
    .kernarg_segment_align: 8
    .kernarg_segment_size: 104
    .language:       OpenCL C
    .language_version:
      - 2
      - 0
    .max_flat_workgroup_size: 121
    .name:           fft_rtc_fwd_len1331_factors_11_11_11_wgs_121_tpt_121_dp_op_CI_CI_sbrc_aligned_dirReg
    .private_segment_fixed_size: 0
    .sgpr_count:     45
    .sgpr_spill_count: 0
    .symbol:         fft_rtc_fwd_len1331_factors_11_11_11_wgs_121_tpt_121_dp_op_CI_CI_sbrc_aligned_dirReg.kd
    .uniform_work_group_size: 1
    .uses_dynamic_stack: false
    .vgpr_count:     97
    .vgpr_spill_count: 0
    .wavefront_size: 64
amdhsa.target:   amdgcn-amd-amdhsa--gfx906
amdhsa.version:
  - 1
  - 2
...

	.end_amdgpu_metadata
